;; amdgpu-corpus repo=ROCm/rocFFT kind=compiled arch=gfx906 opt=O3
	.text
	.amdgcn_target "amdgcn-amd-amdhsa--gfx906"
	.amdhsa_code_object_version 6
	.protected	bluestein_single_fwd_len945_dim1_dp_op_CI_CI ; -- Begin function bluestein_single_fwd_len945_dim1_dp_op_CI_CI
	.globl	bluestein_single_fwd_len945_dim1_dp_op_CI_CI
	.p2align	8
	.type	bluestein_single_fwd_len945_dim1_dp_op_CI_CI,@function
bluestein_single_fwd_len945_dim1_dp_op_CI_CI: ; @bluestein_single_fwd_len945_dim1_dp_op_CI_CI
; %bb.0:
	s_load_dwordx4 s[12:15], s[4:5], 0x28
	s_mov_b64 s[38:39], s[2:3]
	v_mul_u32_u24_e32 v1, 0x411, v0
	s_mov_b64 s[36:37], s[0:1]
	v_add_u32_sdwa v3, s6, v1 dst_sel:DWORD dst_unused:UNUSED_PAD src0_sel:DWORD src1_sel:WORD_1
	v_mov_b32_e32 v4, 0
	s_add_u32 s36, s36, s7
	s_waitcnt lgkmcnt(0)
	v_cmp_gt_u64_e32 vcc, s[12:13], v[3:4]
	s_addc_u32 s37, s37, 0
	s_and_saveexec_b64 s[0:1], vcc
	s_cbranch_execz .LBB0_10
; %bb.1:
	s_load_dwordx4 s[8:11], s[4:5], 0x0
	s_load_dwordx4 s[16:19], s[4:5], 0x18
	s_load_dwordx2 s[12:13], s[4:5], 0x38
	v_mov_b32_e32 v2, 63
	v_mul_lo_u16_sdwa v1, v1, v2 dst_sel:DWORD dst_unused:UNUSED_PAD src0_sel:WORD_1 src1_sel:DWORD
	v_mov_b32_e32 v2, v3
	s_waitcnt lgkmcnt(0)
	s_load_dwordx4 s[4:7], s[18:19], 0x0
	s_load_dwordx4 s[0:3], s[16:17], 0x0
	v_sub_u16_e32 v184, v0, v1
	v_lshlrev_b32_e32 v112, 4, v184
	s_mov_b32 s19, 0xbfe2cf23
                                        ; implicit-def: $vgpr192_vgpr193
                                        ; implicit-def: $vgpr252_vgpr253
                                        ; kill: def $vgpr4 killed $sgpr0 killed $exec
	s_waitcnt lgkmcnt(0)
	v_mad_u64_u32 v[0:1], s[16:17], s2, v3, 0
	buffer_store_dword v2, off, s[36:39], 0 offset:52 ; 4-byte Folded Spill
	s_nop 0
	buffer_store_dword v3, off, s[36:39], 0 offset:56 ; 4-byte Folded Spill
	global_load_dwordx4 v[12:15], v112, s[8:9]
	s_mov_b32 s17, 0xbfee6f0e
	v_mad_u64_u32 v[1:2], s[2:3], s3, v3, v[1:2]
	v_mad_u64_u32 v[2:3], s[2:3], s0, v184, 0
	v_lshlrev_b64 v[0:1], 4, v[0:1]
	v_mad_u64_u32 v[3:4], s[2:3], s1, v184, v[3:4]
	v_add_co_u32_e32 v4, vcc, s14, v0
	v_mov_b32_e32 v0, s15
	v_addc_co_u32_e32 v5, vcc, v0, v1, vcc
	v_lshlrev_b64 v[0:1], 4, v[2:3]
	s_mul_i32 s2, s1, 0x13b0
	v_add_co_u32_e32 v10, vcc, v4, v0
	v_addc_co_u32_e32 v11, vcc, v5, v1, vcc
	global_load_dwordx4 v[2:5], v[10:11], off
	v_add_co_u32_e32 v0, vcc, s8, v112
	v_mov_b32_e32 v1, s9
	s_mul_hi_u32 s3, s0, 0x13b0
	v_addc_co_u32_e32 v1, vcc, 0, v1, vcc
	s_add_i32 s2, s3, s2
	s_mul_i32 s3, s0, 0x13b0
	v_add_co_u32_e32 v10, vcc, s3, v10
	s_movk_i32 s14, 0x1000
	s_mulk_i32 s1, 0xdc90
	s_waitcnt vmcnt(0)
	v_mul_f64 v[6:7], v[4:5], v[14:15]
	v_fma_f64 v[6:7], v[2:3], v[12:13], v[6:7]
	v_mul_f64 v[2:3], v[2:3], v[14:15]
	buffer_store_dword v12, off, s[36:39], 0 offset:124 ; 4-byte Folded Spill
	s_nop 0
	buffer_store_dword v13, off, s[36:39], 0 offset:128 ; 4-byte Folded Spill
	buffer_store_dword v14, off, s[36:39], 0 offset:132 ; 4-byte Folded Spill
	;; [unrolled: 1-line block ×3, first 2 shown]
	v_fma_f64 v[8:9], v[4:5], v[12:13], -v[2:3]
	v_mov_b32_e32 v2, s2
	v_addc_co_u32_e32 v11, vcc, v11, v2, vcc
	v_add_co_u32_e32 v12, vcc, s14, v0
	v_addc_co_u32_e32 v13, vcc, 0, v1, vcc
	global_load_dwordx4 v[2:5], v[10:11], off
	global_load_dwordx4 v[14:17], v[12:13], off offset:944
	ds_write_b128 v112, v[6:9]
	v_add_co_u32_e32 v10, vcc, s3, v10
	s_movk_i32 s14, 0x2000
	s_waitcnt vmcnt(0)
	v_mul_f64 v[6:7], v[4:5], v[16:17]
	v_fma_f64 v[6:7], v[2:3], v[14:15], v[6:7]
	v_mul_f64 v[2:3], v[2:3], v[16:17]
	buffer_store_dword v14, off, s[36:39], 0 offset:20 ; 4-byte Folded Spill
	s_nop 0
	buffer_store_dword v15, off, s[36:39], 0 offset:24 ; 4-byte Folded Spill
	buffer_store_dword v16, off, s[36:39], 0 offset:28 ; 4-byte Folded Spill
	;; [unrolled: 1-line block ×3, first 2 shown]
	v_fma_f64 v[8:9], v[4:5], v[14:15], -v[2:3]
	v_mov_b32_e32 v2, s2
	v_addc_co_u32_e32 v11, vcc, v11, v2, vcc
	v_add_co_u32_e32 v14, vcc, s14, v0
	v_addc_co_u32_e32 v15, vcc, 0, v1, vcc
	global_load_dwordx4 v[2:5], v[10:11], off
	global_load_dwordx4 v[16:19], v[14:15], off offset:1888
	ds_write_b128 v112, v[6:9] offset:5040
	s_mul_hi_u32 s14, s0, 0xffffdc90
	s_sub_i32 s14, s14, s0
	v_add_co_u32_e32 v24, vcc, 63, v184
	s_add_i32 s1, s14, s1
	s_mulk_i32 s0, 0xdc90
	v_add_co_u32_e32 v10, vcc, s0, v10
	s_movk_i32 s14, 0x7e
	s_waitcnt vmcnt(0)
	v_mul_f64 v[6:7], v[4:5], v[18:19]
	v_fma_f64 v[6:7], v[2:3], v[16:17], v[6:7]
	v_mul_f64 v[2:3], v[2:3], v[18:19]
	buffer_store_dword v16, off, s[36:39], 0 offset:36 ; 4-byte Folded Spill
	s_nop 0
	buffer_store_dword v17, off, s[36:39], 0 offset:40 ; 4-byte Folded Spill
	buffer_store_dword v18, off, s[36:39], 0 offset:44 ; 4-byte Folded Spill
	;; [unrolled: 1-line block ×3, first 2 shown]
	v_fma_f64 v[8:9], v[4:5], v[16:17], -v[2:3]
	v_mov_b32_e32 v2, s1
	v_addc_co_u32_e32 v11, vcc, v11, v2, vcc
	ds_write_b128 v112, v[6:9] offset:10080
	global_load_dwordx4 v[2:5], v[10:11], off
	global_load_dwordx4 v[16:19], v112, s[8:9] offset:1008
	v_add_co_u32_e32 v10, vcc, s3, v10
	s_waitcnt vmcnt(0)
	v_mul_f64 v[6:7], v[4:5], v[18:19]
	v_fma_f64 v[6:7], v[2:3], v[16:17], v[6:7]
	v_mul_f64 v[2:3], v[2:3], v[18:19]
	buffer_store_dword v16, off, s[36:39], 0 offset:60 ; 4-byte Folded Spill
	s_nop 0
	buffer_store_dword v17, off, s[36:39], 0 offset:64 ; 4-byte Folded Spill
	buffer_store_dword v18, off, s[36:39], 0 offset:68 ; 4-byte Folded Spill
	;; [unrolled: 1-line block ×3, first 2 shown]
	v_fma_f64 v[8:9], v[4:5], v[16:17], -v[2:3]
	v_mov_b32_e32 v2, s2
	v_addc_co_u32_e32 v11, vcc, v11, v2, vcc
	ds_write_b128 v112, v[6:9] offset:1008
	global_load_dwordx4 v[2:5], v[10:11], off
	global_load_dwordx4 v[16:19], v[12:13], off offset:1952
	v_add_co_u32_e32 v10, vcc, s3, v10
	s_waitcnt vmcnt(0)
	v_mul_f64 v[6:7], v[4:5], v[18:19]
	v_fma_f64 v[6:7], v[2:3], v[16:17], v[6:7]
	v_mul_f64 v[2:3], v[2:3], v[18:19]
	buffer_store_dword v16, off, s[36:39], 0 offset:76 ; 4-byte Folded Spill
	s_nop 0
	buffer_store_dword v17, off, s[36:39], 0 offset:80 ; 4-byte Folded Spill
	buffer_store_dword v18, off, s[36:39], 0 offset:84 ; 4-byte Folded Spill
	;; [unrolled: 1-line block ×3, first 2 shown]
	v_fma_f64 v[8:9], v[4:5], v[16:17], -v[2:3]
	v_mov_b32_e32 v2, s2
	v_addc_co_u32_e32 v11, vcc, v11, v2, vcc
	v_add_co_u32_e32 v115, vcc, s14, v184
	s_movk_i32 s14, 0xbd
	ds_write_b128 v112, v[6:9] offset:6048
	global_load_dwordx4 v[2:5], v[10:11], off
	global_load_dwordx4 v[16:19], v[14:15], off offset:2896
	v_add_co_u32_e32 v10, vcc, s0, v10
	s_waitcnt vmcnt(0)
	v_mul_f64 v[6:7], v[4:5], v[18:19]
	v_fma_f64 v[6:7], v[2:3], v[16:17], v[6:7]
	v_mul_f64 v[2:3], v[2:3], v[18:19]
	buffer_store_dword v16, off, s[36:39], 0 offset:92 ; 4-byte Folded Spill
	s_nop 0
	buffer_store_dword v17, off, s[36:39], 0 offset:96 ; 4-byte Folded Spill
	buffer_store_dword v18, off, s[36:39], 0 offset:100 ; 4-byte Folded Spill
	;; [unrolled: 1-line block ×3, first 2 shown]
	v_fma_f64 v[8:9], v[4:5], v[16:17], -v[2:3]
	v_mov_b32_e32 v2, s1
	v_addc_co_u32_e32 v11, vcc, v11, v2, vcc
	ds_write_b128 v112, v[6:9] offset:11088
	global_load_dwordx4 v[2:5], v[10:11], off
	global_load_dwordx4 v[16:19], v112, s[8:9] offset:2016
	v_add_co_u32_e32 v10, vcc, s3, v10
	s_waitcnt vmcnt(0)
	v_mul_f64 v[6:7], v[4:5], v[18:19]
	v_fma_f64 v[6:7], v[2:3], v[16:17], v[6:7]
	v_mul_f64 v[2:3], v[2:3], v[18:19]
	buffer_store_dword v16, off, s[36:39], 0 offset:108 ; 4-byte Folded Spill
	s_nop 0
	buffer_store_dword v17, off, s[36:39], 0 offset:112 ; 4-byte Folded Spill
	buffer_store_dword v18, off, s[36:39], 0 offset:116 ; 4-byte Folded Spill
	;; [unrolled: 1-line block ×3, first 2 shown]
	v_fma_f64 v[8:9], v[4:5], v[16:17], -v[2:3]
	v_mov_b32_e32 v2, s2
	v_addc_co_u32_e32 v11, vcc, v11, v2, vcc
	ds_write_b128 v112, v[6:9] offset:2016
	global_load_dwordx4 v[2:5], v[10:11], off
	global_load_dwordx4 v[16:19], v[12:13], off offset:2960
	v_add_co_u32_e32 v10, vcc, s3, v10
	s_waitcnt vmcnt(0)
	v_mul_f64 v[6:7], v[4:5], v[18:19]
	v_fma_f64 v[6:7], v[2:3], v[16:17], v[6:7]
	v_mul_f64 v[2:3], v[2:3], v[18:19]
	buffer_store_dword v16, off, s[36:39], 0 offset:140 ; 4-byte Folded Spill
	s_nop 0
	buffer_store_dword v17, off, s[36:39], 0 offset:144 ; 4-byte Folded Spill
	buffer_store_dword v18, off, s[36:39], 0 offset:148 ; 4-byte Folded Spill
	;; [unrolled: 1-line block ×3, first 2 shown]
	v_fma_f64 v[8:9], v[4:5], v[16:17], -v[2:3]
	v_mov_b32_e32 v2, s2
	v_addc_co_u32_e32 v11, vcc, v11, v2, vcc
	v_add_co_u32_e32 v20, vcc, s14, v184
	s_movk_i32 s14, 0x3000
	ds_write_b128 v112, v[6:9] offset:7056
	global_load_dwordx4 v[2:5], v[10:11], off
	global_load_dwordx4 v[16:19], v[14:15], off offset:3904
	v_add_co_u32_e32 v10, vcc, s0, v10
	s_waitcnt vmcnt(0)
	v_mul_f64 v[6:7], v[4:5], v[18:19]
	v_fma_f64 v[6:7], v[2:3], v[16:17], v[6:7]
	v_mul_f64 v[2:3], v[2:3], v[18:19]
	buffer_store_dword v16, off, s[36:39], 0 offset:156 ; 4-byte Folded Spill
	s_nop 0
	buffer_store_dword v17, off, s[36:39], 0 offset:160 ; 4-byte Folded Spill
	buffer_store_dword v18, off, s[36:39], 0 offset:164 ; 4-byte Folded Spill
	;; [unrolled: 1-line block ×3, first 2 shown]
	v_fma_f64 v[8:9], v[4:5], v[16:17], -v[2:3]
	v_mov_b32_e32 v2, s1
	v_addc_co_u32_e32 v11, vcc, v11, v2, vcc
	ds_write_b128 v112, v[6:9] offset:12096
	global_load_dwordx4 v[2:5], v[10:11], off
	global_load_dwordx4 v[16:19], v112, s[8:9] offset:3024
	v_add_co_u32_e32 v10, vcc, s3, v10
	s_waitcnt vmcnt(0)
	v_mul_f64 v[6:7], v[4:5], v[18:19]
	v_fma_f64 v[6:7], v[2:3], v[16:17], v[6:7]
	v_mul_f64 v[2:3], v[2:3], v[18:19]
	buffer_store_dword v16, off, s[36:39], 0 offset:172 ; 4-byte Folded Spill
	s_nop 0
	buffer_store_dword v17, off, s[36:39], 0 offset:176 ; 4-byte Folded Spill
	buffer_store_dword v18, off, s[36:39], 0 offset:180 ; 4-byte Folded Spill
	;; [unrolled: 1-line block ×3, first 2 shown]
	v_fma_f64 v[8:9], v[4:5], v[16:17], -v[2:3]
	v_mov_b32_e32 v2, s2
	v_addc_co_u32_e32 v11, vcc, v11, v2, vcc
	ds_write_b128 v112, v[6:9] offset:3024
	global_load_dwordx4 v[2:5], v[10:11], off
	global_load_dwordx4 v[16:19], v[12:13], off offset:3968
	s_waitcnt vmcnt(0)
	v_mul_f64 v[6:7], v[4:5], v[18:19]
	v_fma_f64 v[6:7], v[2:3], v[16:17], v[6:7]
	v_mul_f64 v[2:3], v[2:3], v[18:19]
	buffer_store_dword v16, off, s[36:39], 0 offset:188 ; 4-byte Folded Spill
	s_nop 0
	buffer_store_dword v17, off, s[36:39], 0 offset:192 ; 4-byte Folded Spill
	buffer_store_dword v18, off, s[36:39], 0 offset:196 ; 4-byte Folded Spill
	;; [unrolled: 1-line block ×3, first 2 shown]
	v_fma_f64 v[8:9], v[4:5], v[16:17], -v[2:3]
	v_mov_b32_e32 v2, s2
	ds_write_b128 v112, v[6:9] offset:8064
	v_add_co_u32_e32 v6, vcc, s3, v10
	v_addc_co_u32_e32 v7, vcc, v11, v2, vcc
	v_add_co_u32_e32 v8, vcc, s14, v0
	v_addc_co_u32_e32 v9, vcc, 0, v1, vcc
	global_load_dwordx4 v[2:5], v[6:7], off
	global_load_dwordx4 v[10:13], v[8:9], off offset:816
	s_movk_i32 s14, 0xfc
	v_add_co_u32_e32 v21, vcc, s14, v184
	s_movk_i32 s14, 0xab
	s_waitcnt vmcnt(0)
	v_mul_f64 v[0:1], v[4:5], v[12:13]
	v_fma_f64 v[0:1], v[2:3], v[10:11], v[0:1]
	v_mul_f64 v[2:3], v[2:3], v[12:13]
	buffer_store_dword v10, off, s[36:39], 0 offset:204 ; 4-byte Folded Spill
	s_nop 0
	buffer_store_dword v11, off, s[36:39], 0 offset:208 ; 4-byte Folded Spill
	buffer_store_dword v12, off, s[36:39], 0 offset:212 ; 4-byte Folded Spill
	;; [unrolled: 1-line block ×3, first 2 shown]
	v_fma_f64 v[2:3], v[4:5], v[10:11], -v[2:3]
	v_add_co_u32_e32 v10, vcc, s0, v6
	ds_write_b128 v112, v[0:3] offset:13104
	v_mov_b32_e32 v0, s1
	v_addc_co_u32_e32 v11, vcc, v7, v0, vcc
	global_load_dwordx4 v[0:3], v[10:11], off
	global_load_dwordx4 v[16:19], v112, s[8:9] offset:4032
	v_add_co_u32_e32 v10, vcc, s3, v10
	s_mov_b32 s0, 0xe8584caa
	s_mov_b32 s1, 0x3febb67a
	s_waitcnt vmcnt(0)
	v_mul_f64 v[4:5], v[2:3], v[18:19]
	v_fma_f64 v[4:5], v[0:1], v[16:17], v[4:5]
	v_mul_f64 v[0:1], v[0:1], v[18:19]
	buffer_store_dword v16, off, s[36:39], 0 offset:236 ; 4-byte Folded Spill
	s_nop 0
	buffer_store_dword v17, off, s[36:39], 0 offset:240 ; 4-byte Folded Spill
	buffer_store_dword v18, off, s[36:39], 0 offset:244 ; 4-byte Folded Spill
	;; [unrolled: 1-line block ×3, first 2 shown]
	v_fma_f64 v[6:7], v[2:3], v[16:17], -v[0:1]
	v_mov_b32_e32 v0, s2
	v_addc_co_u32_e32 v11, vcc, v11, v0, vcc
	ds_write_b128 v112, v[4:7] offset:4032
	global_load_dwordx4 v[0:3], v[10:11], off
	global_load_dwordx4 v[16:19], v[14:15], off offset:880
	s_waitcnt vmcnt(0)
	v_mul_f64 v[4:5], v[2:3], v[18:19]
	v_fma_f64 v[4:5], v[0:1], v[16:17], v[4:5]
	v_mul_f64 v[0:1], v[0:1], v[18:19]
	buffer_store_dword v16, off, s[36:39], 0 offset:220 ; 4-byte Folded Spill
	s_nop 0
	buffer_store_dword v17, off, s[36:39], 0 offset:224 ; 4-byte Folded Spill
	buffer_store_dword v18, off, s[36:39], 0 offset:228 ; 4-byte Folded Spill
	;; [unrolled: 1-line block ×3, first 2 shown]
	v_fma_f64 v[6:7], v[2:3], v[16:17], -v[0:1]
	v_mov_b32_e32 v0, s2
	s_mov_b32 s2, s0
	ds_write_b128 v112, v[4:7] offset:9072
	v_add_co_u32_e32 v4, vcc, s3, v10
	v_addc_co_u32_e32 v5, vcc, v11, v0, vcc
	global_load_dwordx4 v[0:3], v[4:5], off
	global_load_dwordx4 v[10:13], v[8:9], off offset:1824
	s_mov_b32 s3, 0xbfebb67a
	s_waitcnt vmcnt(0)
	v_mul_f64 v[4:5], v[2:3], v[12:13]
	v_fma_f64 v[4:5], v[0:1], v[10:11], v[4:5]
	v_mul_f64 v[0:1], v[0:1], v[12:13]
	buffer_store_dword v10, off, s[36:39], 0 offset:252 ; 4-byte Folded Spill
	s_nop 0
	buffer_store_dword v11, off, s[36:39], 0 offset:256 ; 4-byte Folded Spill
	buffer_store_dword v12, off, s[36:39], 0 offset:260 ; 4-byte Folded Spill
	;; [unrolled: 1-line block ×3, first 2 shown]
	v_fma_f64 v[6:7], v[2:3], v[10:11], -v[0:1]
	ds_write_b128 v112, v[4:7] offset:14112
	s_waitcnt lgkmcnt(0)
	; wave barrier
	s_waitcnt lgkmcnt(0)
	ds_read_b128 v[0:3], v112
	ds_read_b128 v[4:7], v112 offset:5040
	ds_read_b128 v[8:11], v112 offset:10080
	;; [unrolled: 1-line block ×14, first 2 shown]
	s_waitcnt lgkmcnt(13)
	v_add_f64 v[22:23], v[0:1], v[4:5]
	s_waitcnt lgkmcnt(12)
	v_add_f64 v[67:68], v[6:7], -v[10:11]
	s_waitcnt lgkmcnt(0)
	; wave barrier
	s_waitcnt lgkmcnt(0)
	v_add_f64 v[65:66], v[22:23], v[8:9]
	v_add_f64 v[22:23], v[4:5], v[8:9]
	v_add_f64 v[4:5], v[4:5], -v[8:9]
	v_fma_f64 v[22:23], v[22:23], -0.5, v[0:1]
	v_fma_f64 v[0:1], v[67:68], s[0:1], v[22:23]
	v_fma_f64 v[69:70], v[67:68], s[2:3], v[22:23]
	v_add_f64 v[22:23], v[2:3], v[6:7]
	v_add_f64 v[6:7], v[6:7], v[10:11]
	;; [unrolled: 1-line block ×3, first 2 shown]
	v_fma_f64 v[6:7], v[6:7], -0.5, v[2:3]
	v_add_f64 v[10:11], v[18:19], -v[27:28]
	v_add_f64 v[22:23], v[35:36], -v[39:40]
	v_fma_f64 v[2:3], v[4:5], s[2:3], v[6:7]
	v_fma_f64 v[71:72], v[4:5], s[0:1], v[6:7]
	v_add_f64 v[6:7], v[16:17], v[25:26]
	v_add_f64 v[4:5], v[12:13], v[16:17]
	v_add_f64 v[16:17], v[16:17], -v[25:26]
	v_fma_f64 v[6:7], v[6:7], -0.5, v[12:13]
	v_add_f64 v[4:5], v[4:5], v[25:26]
	v_fma_f64 v[8:9], v[10:11], s[0:1], v[6:7]
	v_fma_f64 v[12:13], v[10:11], s[2:3], v[6:7]
	v_add_f64 v[6:7], v[14:15], v[18:19]
	v_add_f64 v[10:11], v[18:19], v[27:28]
	;; [unrolled: 1-line block ×4, first 2 shown]
	v_fma_f64 v[14:15], v[10:11], -0.5, v[14:15]
	v_fma_f64 v[18:19], v[18:19], -0.5, v[29:30]
	v_fma_f64 v[10:11], v[16:17], s[2:3], v[14:15]
	v_fma_f64 v[14:15], v[16:17], s[0:1], v[14:15]
	v_add_f64 v[16:17], v[29:30], v[33:34]
	v_fma_f64 v[25:26], v[22:23], s[0:1], v[18:19]
	v_fma_f64 v[29:30], v[22:23], s[2:3], v[18:19]
	v_add_f64 v[22:23], v[35:36], v[39:40]
	v_add_f64 v[18:19], v[31:32], v[35:36]
	v_add_f64 v[35:36], v[47:48], -v[51:52]
	v_add_f64 v[16:17], v[16:17], v[37:38]
	v_fma_f64 v[22:23], v[22:23], -0.5, v[31:32]
	v_add_f64 v[31:32], v[33:34], -v[37:38]
	v_add_f64 v[18:19], v[18:19], v[39:40]
	v_fma_f64 v[27:28], v[31:32], s[2:3], v[22:23]
	v_fma_f64 v[31:32], v[31:32], s[0:1], v[22:23]
	v_add_f64 v[22:23], v[41:42], v[45:46]
	v_add_f64 v[33:34], v[22:23], v[49:50]
	;; [unrolled: 1-line block ×3, first 2 shown]
	v_fma_f64 v[22:23], v[22:23], -0.5, v[41:42]
	v_fma_f64 v[37:38], v[35:36], s[0:1], v[22:23]
	v_fma_f64 v[41:42], v[35:36], s[2:3], v[22:23]
	v_add_f64 v[22:23], v[43:44], v[47:48]
	v_add_f64 v[35:36], v[22:23], v[51:52]
	;; [unrolled: 1-line block ×3, first 2 shown]
	v_add_f64 v[47:48], v[59:60], -v[63:64]
	v_fma_f64 v[22:23], v[22:23], -0.5, v[43:44]
	v_add_f64 v[43:44], v[45:46], -v[49:50]
	v_fma_f64 v[39:40], v[43:44], s[2:3], v[22:23]
	v_fma_f64 v[43:44], v[43:44], s[0:1], v[22:23]
	v_add_f64 v[22:23], v[53:54], v[57:58]
	v_add_f64 v[45:46], v[22:23], v[61:62]
	;; [unrolled: 1-line block ×3, first 2 shown]
	v_fma_f64 v[22:23], v[22:23], -0.5, v[53:54]
	v_fma_f64 v[49:50], v[47:48], s[0:1], v[22:23]
	v_fma_f64 v[53:54], v[47:48], s[2:3], v[22:23]
	v_add_f64 v[22:23], v[55:56], v[59:60]
	v_add_f64 v[47:48], v[22:23], v[63:64]
	;; [unrolled: 1-line block ×3, first 2 shown]
	v_fma_f64 v[22:23], v[22:23], -0.5, v[55:56]
	v_add_f64 v[55:56], v[57:58], -v[61:62]
	v_fma_f64 v[51:52], v[55:56], s[2:3], v[22:23]
	v_fma_f64 v[55:56], v[55:56], s[0:1], v[22:23]
	v_mul_lo_u16_e32 v22, 3, v184
	v_lshlrev_b32_e32 v22, 4, v22
	ds_write_b128 v22, v[65:68]
	ds_write_b128 v22, v[0:3] offset:16
	v_mul_u32_u24_e32 v0, 3, v24
	v_lshlrev_b32_e32 v0, 4, v0
	buffer_store_dword v22, off, s[36:39], 0 offset:268 ; 4-byte Folded Spill
	ds_write_b128 v22, v[69:72] offset:32
	ds_write_b128 v0, v[4:7]
	ds_write_b128 v0, v[8:11] offset:16
	buffer_store_dword v0, off, s[36:39], 0 offset:272 ; 4-byte Folded Spill
	ds_write_b128 v0, v[12:15] offset:32
	v_mul_u32_u24_e32 v0, 3, v115
	v_mul_lo_u16_sdwa v22, v184, s14 dst_sel:DWORD dst_unused:UNUSED_PAD src0_sel:BYTE_0 src1_sel:DWORD
	v_lshlrev_b32_e32 v0, 4, v0
	v_lshrrev_b16_e32 v22, 9, v22
	ds_write_b128 v0, v[16:19]
	ds_write_b128 v0, v[25:28] offset:16
	buffer_store_dword v0, off, s[36:39], 0 offset:276 ; 4-byte Folded Spill
	ds_write_b128 v0, v[29:32] offset:32
	v_mul_u32_u24_e32 v0, 3, v20
	v_mul_lo_u16_e32 v23, 3, v22
	v_lshlrev_b32_e32 v0, 4, v0
	v_sub_u16_e32 v23, v184, v23
	ds_write_b128 v0, v[33:36]
	ds_write_b128 v0, v[37:40] offset:16
	buffer_store_dword v0, off, s[36:39], 0 offset:280 ; 4-byte Folded Spill
	ds_write_b128 v0, v[41:44] offset:32
	v_mul_u32_u24_e32 v0, 3, v21
	v_and_b32_e32 v23, 0xff, v23
	v_lshlrev_b32_e32 v0, 4, v0
	v_lshlrev_b32_e32 v65, 5, v23
	ds_write_b128 v0, v[45:48]
	ds_write_b128 v0, v[49:52] offset:16
	buffer_store_dword v0, off, s[36:39], 0 offset:284 ; 4-byte Folded Spill
	ds_write_b128 v0, v[53:56] offset:32
	s_waitcnt lgkmcnt(0)
	; wave barrier
	s_waitcnt lgkmcnt(0)
	ds_read_b128 v[16:19], v112
	ds_read_b128 v[25:28], v112 offset:5040
	ds_read_b128 v[29:32], v112 offset:10080
	;; [unrolled: 1-line block ×14, first 2 shown]
	global_load_dwordx4 v[71:74], v65, s[10:11] offset:16
	global_load_dwordx4 v[67:70], v65, s[10:11]
	v_mul_u32_u24_e32 v22, 9, v22
	v_add_lshl_u32 v22, v22, v23, 4
	s_waitcnt vmcnt(0) lgkmcnt(13)
	v_mul_f64 v[65:66], v[27:28], v[69:70]
	v_fma_f64 v[65:66], v[25:26], v[67:68], -v[65:66]
	v_mul_f64 v[25:26], v[25:26], v[69:70]
	buffer_store_dword v67, off, s[36:39], 0 offset:304 ; 4-byte Folded Spill
	s_nop 0
	buffer_store_dword v68, off, s[36:39], 0 offset:308 ; 4-byte Folded Spill
	buffer_store_dword v69, off, s[36:39], 0 offset:312 ; 4-byte Folded Spill
	buffer_store_dword v70, off, s[36:39], 0 offset:316 ; 4-byte Folded Spill
	v_fma_f64 v[67:68], v[27:28], v[67:68], v[25:26]
	s_waitcnt lgkmcnt(12)
	v_mul_f64 v[25:26], v[31:32], v[73:74]
	v_fma_f64 v[69:70], v[29:30], v[71:72], -v[25:26]
	v_mul_f64 v[25:26], v[29:30], v[73:74]
	buffer_store_dword v71, off, s[36:39], 0 offset:288 ; 4-byte Folded Spill
	s_nop 0
	buffer_store_dword v72, off, s[36:39], 0 offset:292 ; 4-byte Folded Spill
	buffer_store_dword v73, off, s[36:39], 0 offset:296 ; 4-byte Folded Spill
	;; [unrolled: 1-line block ×3, first 2 shown]
	v_fma_f64 v[71:72], v[31:32], v[71:72], v[25:26]
	v_mul_lo_u16_sdwa v25, v24, s14 dst_sel:DWORD dst_unused:UNUSED_PAD src0_sel:BYTE_0 src1_sel:DWORD
	v_lshrrev_b16_e32 v25, 9, v25
	v_mul_lo_u16_e32 v26, 3, v25
	v_sub_u16_e32 v26, v24, v26
	v_and_b32_e32 v26, 0xff, v26
	v_lshlrev_b32_e32 v27, 5, v26
	global_load_dwordx4 v[29:32], v27, s[10:11] offset:16
	global_load_dwordx4 v[75:78], v27, s[10:11]
	s_waitcnt vmcnt(0) lgkmcnt(10)
	v_mul_f64 v[27:28], v[35:36], v[77:78]
	v_fma_f64 v[73:74], v[33:34], v[75:76], -v[27:28]
	v_mul_f64 v[27:28], v[33:34], v[77:78]
	buffer_store_dword v75, off, s[36:39], 0 offset:336 ; 4-byte Folded Spill
	s_nop 0
	buffer_store_dword v76, off, s[36:39], 0 offset:340 ; 4-byte Folded Spill
	buffer_store_dword v77, off, s[36:39], 0 offset:344 ; 4-byte Folded Spill
	;; [unrolled: 1-line block ×3, first 2 shown]
	v_fma_f64 v[75:76], v[35:36], v[75:76], v[27:28]
	s_waitcnt lgkmcnt(9)
	v_mul_f64 v[27:28], v[39:40], v[31:32]
	v_fma_f64 v[77:78], v[37:38], v[29:30], -v[27:28]
	v_mul_f64 v[27:28], v[37:38], v[31:32]
	buffer_store_dword v29, off, s[36:39], 0 offset:320 ; 4-byte Folded Spill
	s_nop 0
	buffer_store_dword v30, off, s[36:39], 0 offset:324 ; 4-byte Folded Spill
	buffer_store_dword v31, off, s[36:39], 0 offset:328 ; 4-byte Folded Spill
	;; [unrolled: 1-line block ×3, first 2 shown]
	v_fma_f64 v[79:80], v[39:40], v[29:30], v[27:28]
	v_mul_lo_u16_sdwa v27, v115, s14 dst_sel:DWORD dst_unused:UNUSED_PAD src0_sel:BYTE_0 src1_sel:DWORD
	v_lshrrev_b16_e32 v27, 9, v27
	v_mul_lo_u16_e32 v28, 3, v27
	v_sub_u16_e32 v28, v115, v28
	v_and_b32_e32 v28, 0xff, v28
	v_lshlrev_b32_e32 v29, 5, v28
	global_load_dwordx4 v[31:34], v29, s[10:11] offset:16
	global_load_dwordx4 v[35:38], v29, s[10:11]
	s_waitcnt vmcnt(0) lgkmcnt(7)
	v_mul_f64 v[29:30], v[43:44], v[37:38]
	v_fma_f64 v[81:82], v[41:42], v[35:36], -v[29:30]
	v_mul_f64 v[29:30], v[41:42], v[37:38]
	buffer_store_dword v35, off, s[36:39], 0 offset:368 ; 4-byte Folded Spill
	s_nop 0
	buffer_store_dword v36, off, s[36:39], 0 offset:372 ; 4-byte Folded Spill
	buffer_store_dword v37, off, s[36:39], 0 offset:376 ; 4-byte Folded Spill
	;; [unrolled: 1-line block ×3, first 2 shown]
	v_add_f64 v[41:42], v[65:66], -v[69:70]
	v_fma_f64 v[100:101], v[43:44], v[35:36], v[29:30]
	s_waitcnt lgkmcnt(6)
	v_mul_f64 v[29:30], v[47:48], v[33:34]
	v_add_f64 v[43:44], v[73:74], v[77:78]
	v_fma_f64 v[102:103], v[45:46], v[31:32], -v[29:30]
	v_mul_f64 v[29:30], v[45:46], v[33:34]
	buffer_store_dword v31, off, s[36:39], 0 offset:352 ; 4-byte Folded Spill
	s_nop 0
	buffer_store_dword v32, off, s[36:39], 0 offset:356 ; 4-byte Folded Spill
	buffer_store_dword v33, off, s[36:39], 0 offset:360 ; 4-byte Folded Spill
	;; [unrolled: 1-line block ×3, first 2 shown]
	v_fma_f64 v[43:44], v[43:44], -0.5, v[12:13]
	v_add_f64 v[45:46], v[75:76], -v[79:80]
	v_fma_f64 v[104:105], v[47:48], v[31:32], v[29:30]
	v_mul_lo_u16_sdwa v29, v20, s14 dst_sel:DWORD dst_unused:UNUSED_PAD src0_sel:BYTE_0 src1_sel:DWORD
	v_lshrrev_b16_e32 v29, 9, v29
	v_mul_lo_u16_e32 v30, 3, v29
	v_sub_u16_e32 v30, v20, v30
	v_and_b32_e32 v30, 0xff, v30
	v_lshlrev_b32_e32 v31, 5, v30
	global_load_dwordx4 v[33:36], v31, s[10:11] offset:16
	global_load_dwordx4 v[37:40], v31, s[10:11]
	s_mov_b32 s14, 0xaaab
	v_add_f64 v[47:48], v[75:76], v[79:80]
	v_fma_f64 v[47:48], v[47:48], -0.5, v[14:15]
	s_waitcnt vmcnt(0) lgkmcnt(4)
	v_mul_f64 v[31:32], v[51:52], v[39:40]
	v_fma_f64 v[106:107], v[49:50], v[37:38], -v[31:32]
	v_mul_f64 v[31:32], v[49:50], v[39:40]
	buffer_store_dword v37, off, s[36:39], 0 offset:440 ; 4-byte Folded Spill
	s_nop 0
	buffer_store_dword v38, off, s[36:39], 0 offset:444 ; 4-byte Folded Spill
	buffer_store_dword v39, off, s[36:39], 0 offset:448 ; 4-byte Folded Spill
	buffer_store_dword v40, off, s[36:39], 0 offset:452 ; 4-byte Folded Spill
	v_add_f64 v[39:40], v[67:68], v[71:72]
	v_add_f64 v[49:50], v[73:74], -v[77:78]
	v_fma_f64 v[39:40], v[39:40], -0.5, v[18:19]
	v_fma_f64 v[108:109], v[51:52], v[37:38], v[31:32]
	s_waitcnt lgkmcnt(3)
	v_mul_f64 v[31:32], v[55:56], v[35:36]
	v_add_f64 v[37:38], v[67:68], -v[71:72]
	v_add_f64 v[51:52], v[81:82], v[102:103]
	v_fma_f64 v[110:111], v[53:54], v[33:34], -v[31:32]
	v_mul_f64 v[31:32], v[53:54], v[35:36]
	buffer_store_dword v33, off, s[36:39], 0 offset:424 ; 4-byte Folded Spill
	s_nop 0
	buffer_store_dword v34, off, s[36:39], 0 offset:428 ; 4-byte Folded Spill
	buffer_store_dword v35, off, s[36:39], 0 offset:432 ; 4-byte Folded Spill
	;; [unrolled: 1-line block ×3, first 2 shown]
	v_add_f64 v[35:36], v[65:66], v[69:70]
	v_fma_f64 v[51:52], v[51:52], -0.5, v[8:9]
	v_add_f64 v[53:54], v[100:101], -v[104:105]
	v_fma_f64 v[35:36], v[35:36], -0.5, v[16:17]
	v_fma_f64 v[113:114], v[55:56], v[33:34], v[31:32]
	v_mul_u32_u24_sdwa v31, v21, s14 dst_sel:DWORD dst_unused:UNUSED_PAD src0_sel:WORD_0 src1_sel:DWORD
	v_lshrrev_b32_e32 v31, 17, v31
	v_mul_lo_u16_e32 v32, 3, v31
	v_sub_u16_e32 v32, v21, v32
	v_lshlrev_b16_e32 v33, 1, v32
	v_lshlrev_b32_e32 v33, 4, v33
	global_load_dwordx4 v[92:95], v33, s[10:11] offset:16
	global_load_dwordx4 v[96:99], v33, s[10:11]
	v_add_f64 v[55:56], v[100:101], v[104:105]
	s_waitcnt lgkmcnt(0)
	; wave barrier
	s_waitcnt lgkmcnt(0)
	s_mov_b32 s14, 0xe38f
	v_fma_f64 v[55:56], v[55:56], -0.5, v[10:11]
	s_waitcnt vmcnt(0)
	v_mul_f64 v[33:34], v[59:60], v[98:99]
	v_fma_f64 v[116:117], v[57:58], v[96:97], -v[33:34]
	v_mul_f64 v[33:34], v[57:58], v[98:99]
	v_add_f64 v[57:58], v[81:82], -v[102:103]
	v_fma_f64 v[118:119], v[59:60], v[96:97], v[33:34]
	v_mul_f64 v[33:34], v[63:64], v[94:95]
	v_add_f64 v[59:60], v[106:107], v[110:111]
	v_fma_f64 v[120:121], v[61:62], v[92:93], -v[33:34]
	v_mul_f64 v[33:34], v[61:62], v[94:95]
	v_fma_f64 v[59:60], v[59:60], -0.5, v[4:5]
	v_add_f64 v[61:62], v[108:109], -v[113:114]
	v_fma_f64 v[122:123], v[63:64], v[92:93], v[33:34]
	v_add_f64 v[33:34], v[16:17], v[65:66]
	v_fma_f64 v[16:17], v[37:38], s[0:1], v[35:36]
	v_fma_f64 v[37:38], v[37:38], s[2:3], v[35:36]
	v_add_f64 v[35:36], v[18:19], v[67:68]
	v_add_f64 v[63:64], v[108:109], v[113:114]
	;; [unrolled: 1-line block ×3, first 2 shown]
	v_add_f64 v[65:66], v[106:107], -v[110:111]
	v_fma_f64 v[18:19], v[41:42], s[2:3], v[39:40]
	v_add_f64 v[33:34], v[33:34], v[69:70]
	v_add_f64 v[69:70], v[118:119], -v[122:123]
	v_fma_f64 v[39:40], v[41:42], s[0:1], v[39:40]
	v_add_f64 v[35:36], v[35:36], v[71:72]
	v_fma_f64 v[63:64], v[63:64], -0.5, v[6:7]
	v_fma_f64 v[67:68], v[67:68], -0.5, v[0:1]
	v_add_f64 v[71:72], v[118:119], v[122:123]
	v_add_f64 v[41:42], v[12:13], v[73:74]
	v_fma_f64 v[12:13], v[45:46], s[0:1], v[43:44]
	v_fma_f64 v[45:46], v[45:46], s[2:3], v[43:44]
	v_add_f64 v[43:44], v[14:15], v[75:76]
	v_fma_f64 v[14:15], v[49:50], s[2:3], v[47:48]
	v_fma_f64 v[47:48], v[49:50], s[0:1], v[47:48]
	;; [unrolled: 3-line block ×7, first 2 shown]
	v_add_f64 v[67:68], v[2:3], v[118:119]
	v_fma_f64 v[71:72], v[71:72], -0.5, v[2:3]
	v_add_f64 v[73:74], v[116:117], -v[120:121]
	v_add_f64 v[41:42], v[41:42], v[77:78]
	v_add_f64 v[43:44], v[43:44], v[79:80]
	;; [unrolled: 1-line block ×8, first 2 shown]
	ds_write_b128 v22, v[33:36]
	ds_write_b128 v22, v[16:19] offset:48
	v_mul_u32_u24_e32 v16, 9, v25
	v_fma_f64 v[2:3], v[73:74], s[2:3], v[71:72]
	v_fma_f64 v[71:72], v[73:74], s[0:1], v[71:72]
	v_add_lshl_u32 v16, v16, v26, 4
	buffer_store_dword v22, off, s[36:39], 0 offset:384 ; 4-byte Folded Spill
	ds_write_b128 v22, v[37:40] offset:96
	ds_write_b128 v16, v[41:44]
	ds_write_b128 v16, v[12:15] offset:48
	v_mul_u32_u24_e32 v12, 9, v27
	v_mov_b32_e32 v79, 57
	v_add_lshl_u32 v12, v12, v28, 4
	v_mul_lo_u16_sdwa v22, v184, v79 dst_sel:DWORD dst_unused:UNUSED_PAD src0_sel:BYTE_0 src1_sel:DWORD
	buffer_store_dword v16, off, s[36:39], 0 offset:388 ; 4-byte Folded Spill
	ds_write_b128 v16, v[45:48] offset:96
	ds_write_b128 v12, v[49:52]
	ds_write_b128 v12, v[8:11] offset:48
	v_mul_u32_u24_e32 v8, 9, v29
	v_lshrrev_b16_e32 v22, 9, v22
	v_add_lshl_u32 v8, v8, v30, 4
	v_mul_lo_u16_e32 v23, 9, v22
	buffer_store_dword v12, off, s[36:39], 0 offset:392 ; 4-byte Folded Spill
	ds_write_b128 v12, v[53:56] offset:96
	ds_write_b128 v8, v[57:60]
	ds_write_b128 v8, v[4:7] offset:48
	v_mad_legacy_u16 v4, v31, 9, v32
	v_sub_u16_e32 v23, v184, v23
	v_lshlrev_b32_e32 v4, 4, v4
	v_and_b32_e32 v23, 0xff, v23
	buffer_store_dword v8, off, s[36:39], 0 offset:396 ; 4-byte Folded Spill
	ds_write_b128 v8, v[61:64] offset:96
	ds_write_b128 v4, v[65:68]
	ds_write_b128 v4, v[0:3] offset:48
	v_lshlrev_b32_e32 v65, 5, v23
	buffer_store_dword v4, off, s[36:39], 0 offset:400 ; 4-byte Folded Spill
	ds_write_b128 v4, v[69:72] offset:96
	s_waitcnt lgkmcnt(0)
	; wave barrier
	s_waitcnt lgkmcnt(0)
	ds_read_b128 v[16:19], v112
	ds_read_b128 v[25:28], v112 offset:5040
	ds_read_b128 v[29:32], v112 offset:10080
	;; [unrolled: 1-line block ×14, first 2 shown]
	global_load_dwordx4 v[100:103], v65, s[10:11] offset:112
	global_load_dwordx4 v[104:107], v65, s[10:11] offset:96
	v_mul_lo_u16_e32 v22, 27, v22
	v_and_b32_e32 v22, 0xff, v22
	v_add_lshl_u32 v22, v22, v23, 4
	s_waitcnt vmcnt(0) lgkmcnt(13)
	v_mul_f64 v[65:66], v[27:28], v[106:107]
	v_fma_f64 v[65:66], v[25:26], v[104:105], -v[65:66]
	v_mul_f64 v[25:26], v[25:26], v[106:107]
	v_fma_f64 v[67:68], v[27:28], v[104:105], v[25:26]
	s_waitcnt lgkmcnt(12)
	v_mul_f64 v[25:26], v[31:32], v[102:103]
	v_fma_f64 v[69:70], v[29:30], v[100:101], -v[25:26]
	v_mul_f64 v[25:26], v[29:30], v[102:103]
	v_fma_f64 v[71:72], v[31:32], v[100:101], v[25:26]
	v_mul_lo_u16_sdwa v25, v24, v79 dst_sel:DWORD dst_unused:UNUSED_PAD src0_sel:BYTE_0 src1_sel:DWORD
	v_lshrrev_b16_e32 v25, 9, v25
	v_mul_lo_u16_e32 v26, 9, v25
	v_sub_u16_e32 v26, v24, v26
	v_and_b32_e32 v26, 0xff, v26
	v_lshlrev_b32_e32 v27, 5, v26
	global_load_dwordx4 v[108:111], v27, s[10:11] offset:112
	global_load_dwordx4 v[80:83], v27, s[10:11] offset:96
	v_mov_b32_e32 v32, s11
	s_waitcnt vmcnt(0) lgkmcnt(10)
	v_mul_f64 v[27:28], v[35:36], v[82:83]
	v_fma_f64 v[73:74], v[33:34], v[80:81], -v[27:28]
	v_mul_f64 v[27:28], v[33:34], v[82:83]
	v_add_f64 v[33:34], v[65:66], v[69:70]
	v_fma_f64 v[75:76], v[35:36], v[80:81], v[27:28]
	s_waitcnt lgkmcnt(9)
	v_mul_f64 v[27:28], v[39:40], v[110:111]
	v_fma_f64 v[33:34], v[33:34], -0.5, v[16:17]
	v_add_f64 v[35:36], v[67:68], -v[71:72]
	v_fma_f64 v[77:78], v[37:38], v[108:109], -v[27:28]
	v_mul_f64 v[27:28], v[37:38], v[110:111]
	v_add_f64 v[37:38], v[67:68], v[71:72]
	v_fma_f64 v[113:114], v[39:40], v[108:109], v[27:28]
	v_mul_lo_u16_sdwa v27, v115, v79 dst_sel:DWORD dst_unused:UNUSED_PAD src0_sel:BYTE_0 src1_sel:DWORD
	v_lshrrev_b16_e32 v27, 9, v27
	v_mul_lo_u16_e32 v28, 9, v27
	v_sub_u16_e32 v28, v115, v28
	v_and_b32_e32 v28, 0xff, v28
	v_lshlrev_b32_e32 v29, 5, v28
	global_load_dwordx4 v[116:119], v29, s[10:11] offset:112
	global_load_dwordx4 v[120:123], v29, s[10:11] offset:96
	v_add_f64 v[39:40], v[65:66], -v[69:70]
	v_fma_f64 v[37:38], v[37:38], -0.5, v[18:19]
	s_waitcnt vmcnt(0) lgkmcnt(7)
	v_mul_f64 v[29:30], v[43:44], v[122:123]
	v_fma_f64 v[140:141], v[41:42], v[120:121], -v[29:30]
	v_mul_f64 v[29:30], v[41:42], v[122:123]
	v_add_f64 v[41:42], v[73:74], v[77:78]
	v_fma_f64 v[142:143], v[43:44], v[120:121], v[29:30]
	s_waitcnt lgkmcnt(6)
	v_mul_f64 v[29:30], v[47:48], v[118:119]
	v_fma_f64 v[41:42], v[41:42], -0.5, v[12:13]
	v_add_f64 v[43:44], v[75:76], -v[113:114]
	v_fma_f64 v[144:145], v[45:46], v[116:117], -v[29:30]
	v_mul_f64 v[29:30], v[45:46], v[118:119]
	v_add_f64 v[45:46], v[75:76], v[113:114]
	v_fma_f64 v[146:147], v[47:48], v[116:117], v[29:30]
	v_mul_lo_u16_sdwa v29, v20, v79 dst_sel:DWORD dst_unused:UNUSED_PAD src0_sel:BYTE_0 src1_sel:DWORD
	v_lshrrev_b16_e32 v29, 9, v29
	v_mul_lo_u16_e32 v30, 9, v29
	v_sub_u16_e32 v20, v20, v30
	v_and_b32_e32 v20, 0xff, v20
	v_lshlrev_b32_e32 v30, 5, v20
	global_load_dwordx4 v[124:127], v30, s[10:11] offset:112
	global_load_dwordx4 v[128:131], v30, s[10:11] offset:96
	v_fma_f64 v[45:46], v[45:46], -0.5, v[14:15]
	v_add_f64 v[47:48], v[73:74], -v[77:78]
	s_waitcnt vmcnt(0) lgkmcnt(4)
	v_mul_f64 v[30:31], v[51:52], v[130:131]
	v_fma_f64 v[148:149], v[49:50], v[128:129], -v[30:31]
	v_mul_f64 v[30:31], v[49:50], v[130:131]
	v_add_f64 v[49:50], v[140:141], v[144:145]
	v_fma_f64 v[150:151], v[51:52], v[128:129], v[30:31]
	s_waitcnt lgkmcnt(3)
	v_mul_f64 v[30:31], v[55:56], v[126:127]
	v_fma_f64 v[49:50], v[49:50], -0.5, v[8:9]
	v_add_f64 v[51:52], v[142:143], -v[146:147]
	v_fma_f64 v[152:153], v[53:54], v[124:125], -v[30:31]
	v_mul_f64 v[30:31], v[53:54], v[126:127]
	v_add_f64 v[53:54], v[142:143], v[146:147]
	v_fma_f64 v[154:155], v[55:56], v[124:125], v[30:31]
	v_mul_u32_u24_sdwa v30, v21, s14 dst_sel:DWORD dst_unused:UNUSED_PAD src0_sel:WORD_0 src1_sel:DWORD
	v_lshrrev_b32_e32 v30, 19, v30
	v_mul_lo_u16_e32 v31, 9, v30
	v_sub_u16_e32 v21, v21, v31
	v_lshlrev_b16_e32 v31, 5, v21
	v_add_co_u32_e32 v31, vcc, s10, v31
	v_addc_co_u32_e32 v32, vcc, 0, v32, vcc
	global_load_dwordx4 v[132:135], v[31:32], off offset:112
	global_load_dwordx4 v[136:139], v[31:32], off offset:96
	v_fma_f64 v[53:54], v[53:54], -0.5, v[10:11]
	v_add_f64 v[55:56], v[140:141], -v[144:145]
	s_waitcnt lgkmcnt(0)
	; wave barrier
	s_waitcnt lgkmcnt(0)
	s_mov_b32 s14, 0x134454ff
	s_mov_b32 s15, 0x3fee6f0e
	;; [unrolled: 1-line block ×3, first 2 shown]
	s_waitcnt vmcnt(0)
	v_mul_f64 v[31:32], v[59:60], v[138:139]
	v_fma_f64 v[156:157], v[57:58], v[136:137], -v[31:32]
	v_mul_f64 v[31:32], v[57:58], v[138:139]
	v_add_f64 v[57:58], v[148:149], v[152:153]
	v_fma_f64 v[158:159], v[59:60], v[136:137], v[31:32]
	v_mul_f64 v[31:32], v[63:64], v[134:135]
	v_fma_f64 v[57:58], v[57:58], -0.5, v[4:5]
	v_add_f64 v[59:60], v[150:151], -v[154:155]
	v_fma_f64 v[160:161], v[61:62], v[132:133], -v[31:32]
	v_mul_f64 v[31:32], v[61:62], v[134:135]
	v_add_f64 v[61:62], v[150:151], v[154:155]
	v_fma_f64 v[162:163], v[63:64], v[132:133], v[31:32]
	v_add_f64 v[31:32], v[16:17], v[65:66]
	v_add_f64 v[65:66], v[156:157], v[160:161]
	v_fma_f64 v[16:17], v[35:36], s[0:1], v[33:34]
	v_fma_f64 v[35:36], v[35:36], s[2:3], v[33:34]
	v_add_f64 v[33:34], v[18:19], v[67:68]
	v_fma_f64 v[61:62], v[61:62], -0.5, v[6:7]
	v_add_f64 v[63:64], v[148:149], -v[152:153]
	v_add_f64 v[67:68], v[158:159], -v[162:163]
	v_add_f64 v[31:32], v[31:32], v[69:70]
	v_fma_f64 v[65:66], v[65:66], -0.5, v[0:1]
	v_add_f64 v[69:70], v[158:159], v[162:163]
	v_fma_f64 v[18:19], v[39:40], s[2:3], v[37:38]
	v_fma_f64 v[37:38], v[39:40], s[0:1], v[37:38]
	v_add_f64 v[39:40], v[12:13], v[73:74]
	v_fma_f64 v[12:13], v[43:44], s[0:1], v[41:42]
	v_fma_f64 v[43:44], v[43:44], s[2:3], v[41:42]
	v_add_f64 v[41:42], v[14:15], v[75:76]
	v_fma_f64 v[14:15], v[47:48], s[2:3], v[45:46]
	v_fma_f64 v[45:46], v[47:48], s[0:1], v[45:46]
	v_add_f64 v[47:48], v[8:9], v[140:141]
	v_fma_f64 v[8:9], v[51:52], s[0:1], v[49:50]
	v_fma_f64 v[51:52], v[51:52], s[2:3], v[49:50]
	v_add_f64 v[49:50], v[10:11], v[142:143]
	v_fma_f64 v[10:11], v[55:56], s[2:3], v[53:54]
	v_fma_f64 v[53:54], v[55:56], s[0:1], v[53:54]
	v_add_f64 v[55:56], v[4:5], v[148:149]
	v_fma_f64 v[4:5], v[59:60], s[0:1], v[57:58]
	v_fma_f64 v[59:60], v[59:60], s[2:3], v[57:58]
	v_add_f64 v[57:58], v[6:7], v[150:151]
	v_add_f64 v[33:34], v[33:34], v[71:72]
	v_fma_f64 v[6:7], v[63:64], s[2:3], v[61:62]
	v_fma_f64 v[61:62], v[63:64], s[0:1], v[61:62]
	v_add_f64 v[63:64], v[0:1], v[156:157]
	v_fma_f64 v[0:1], v[67:68], s[0:1], v[65:66]
	v_fma_f64 v[67:68], v[67:68], s[2:3], v[65:66]
	v_add_f64 v[65:66], v[2:3], v[158:159]
	v_fma_f64 v[69:70], v[69:70], -0.5, v[2:3]
	v_add_f64 v[71:72], v[156:157], -v[160:161]
	v_add_f64 v[39:40], v[39:40], v[77:78]
	v_add_f64 v[41:42], v[41:42], v[113:114]
	;; [unrolled: 1-line block ×8, first 2 shown]
	v_fma_f64 v[2:3], v[71:72], s[2:3], v[69:70]
	v_fma_f64 v[69:70], v[71:72], s[0:1], v[69:70]
	ds_write_b128 v22, v[31:34]
	ds_write_b128 v22, v[16:19] offset:144
	v_mul_u32_u24_e32 v16, 27, v25
	v_add_lshl_u32 v16, v16, v26, 4
	buffer_store_dword v22, off, s[36:39], 0 offset:404 ; 4-byte Folded Spill
	ds_write_b128 v22, v[35:38] offset:288
	ds_write_b128 v16, v[39:42]
	ds_write_b128 v16, v[12:15] offset:144
	v_mul_u32_u24_e32 v12, 27, v27
	v_add_lshl_u32 v12, v12, v28, 4
	buffer_store_dword v16, off, s[36:39], 0 offset:408 ; 4-byte Folded Spill
	ds_write_b128 v16, v[43:46] offset:288
	;; [unrolled: 6-line block ×3, first 2 shown]
	ds_write_b128 v8, v[55:58]
	ds_write_b128 v8, v[4:7] offset:144
	v_mad_legacy_u16 v4, v30, 27, v21
	v_lshlrev_b32_e32 v4, 4, v4
	v_mov_b32_e32 v18, 19
	buffer_store_dword v8, off, s[36:39], 0 offset:416 ; 4-byte Folded Spill
	ds_write_b128 v8, v[59:62] offset:288
	ds_write_b128 v4, v[63:66]
	ds_write_b128 v4, v[0:3] offset:144
	buffer_store_dword v4, off, s[36:39], 0 offset:420 ; 4-byte Folded Spill
	ds_write_b128 v4, v[67:70] offset:288
	v_mul_lo_u16_sdwa v4, v184, v18 dst_sel:DWORD dst_unused:UNUSED_PAD src0_sel:BYTE_0 src1_sel:DWORD
	v_lshrrev_b16_e32 v66, 9, v4
	v_mul_lo_u16_e32 v4, 27, v66
	v_sub_u16_e32 v4, v184, v4
	v_and_b32_e32 v67, 0xff, v4
	v_lshlrev_b32_e32 v4, 6, v67
	s_waitcnt lgkmcnt(0)
	; wave barrier
	s_waitcnt lgkmcnt(0)
	ds_read_b128 v[20:23], v112
	ds_read_b128 v[0:3], v112 offset:3024
	ds_read_b128 v[14:17], v112 offset:6048
	;; [unrolled: 1-line block ×14, first 2 shown]
	global_load_dwordx4 v[144:147], v4, s[10:11] offset:432
	global_load_dwordx4 v[148:151], v4, s[10:11] offset:416
	;; [unrolled: 1-line block ×4, first 2 shown]
	s_mov_b32 s0, 0x4755a5e
	s_mov_b32 s1, 0x3fe2cf23
	;; [unrolled: 1-line block ×5, first 2 shown]
	s_waitcnt vmcnt(0) lgkmcnt(13)
	v_mul_f64 v[4:5], v[2:3], v[158:159]
	v_fma_f64 v[26:27], v[0:1], v[156:157], -v[4:5]
	v_mul_f64 v[0:1], v[0:1], v[158:159]
	v_fma_f64 v[28:29], v[2:3], v[156:157], v[0:1]
	s_waitcnt lgkmcnt(12)
	v_mul_f64 v[0:1], v[16:17], v[154:155]
	v_fma_f64 v[78:79], v[14:15], v[152:153], -v[0:1]
	v_mul_f64 v[0:1], v[14:15], v[154:155]
	v_fma_f64 v[30:31], v[16:17], v[152:153], v[0:1]
	s_waitcnt lgkmcnt(11)
	v_mul_f64 v[0:1], v[34:35], v[150:151]
	v_fma_f64 v[113:114], v[32:33], v[148:149], -v[0:1]
	v_mul_f64 v[0:1], v[32:33], v[150:151]
	v_add_f64 v[16:17], v[78:79], v[113:114]
	v_fma_f64 v[54:55], v[34:35], v[148:149], v[0:1]
	s_waitcnt lgkmcnt(10)
	v_mul_f64 v[0:1], v[38:39], v[146:147]
	v_fma_f64 v[16:17], v[16:17], -0.5, v[20:21]
	v_fma_f64 v[172:173], v[36:37], v[144:145], -v[0:1]
	v_mul_f64 v[0:1], v[36:37], v[146:147]
	v_fma_f64 v[56:57], v[38:39], v[144:145], v[0:1]
	v_mul_lo_u16_sdwa v0, v24, v18 dst_sel:DWORD dst_unused:UNUSED_PAD src0_sel:BYTE_0 src1_sel:DWORD
	v_lshrrev_b16_e32 v68, 9, v0
	v_mul_lo_u16_e32 v0, 27, v68
	v_sub_u16_e32 v0, v24, v0
	v_and_b32_e32 v69, 0xff, v0
	v_lshlrev_b32_e32 v0, 6, v69
	global_load_dwordx4 v[164:167], v0, s[10:11] offset:432
	global_load_dwordx4 v[176:179], v0, s[10:11] offset:416
	;; [unrolled: 1-line block ×4, first 2 shown]
	v_add_f64 v[24:25], v[26:27], -v[78:79]
	s_waitcnt vmcnt(0) lgkmcnt(8)
	v_mul_f64 v[0:1], v[42:43], v[214:215]
	v_fma_f64 v[58:59], v[40:41], v[212:213], -v[0:1]
	v_mul_f64 v[0:1], v[40:41], v[214:215]
	v_fma_f64 v[4:5], v[42:43], v[212:213], v[0:1]
	s_waitcnt lgkmcnt(7)
	v_mul_f64 v[0:1], v[46:47], v[182:183]
	v_fma_f64 v[60:61], v[44:45], v[180:181], -v[0:1]
	v_mul_f64 v[0:1], v[44:45], v[182:183]
	v_fma_f64 v[40:41], v[46:47], v[180:181], v[0:1]
	s_waitcnt lgkmcnt(6)
	v_mul_f64 v[0:1], v[50:51], v[178:179]
	v_fma_f64 v[62:63], v[48:49], v[176:177], -v[0:1]
	v_mul_f64 v[0:1], v[48:49], v[178:179]
	v_fma_f64 v[42:43], v[50:51], v[176:177], v[0:1]
	s_waitcnt lgkmcnt(5)
	v_mul_f64 v[0:1], v[72:73], v[166:167]
	v_fma_f64 v[64:65], v[70:71], v[164:165], -v[0:1]
	v_mul_f64 v[0:1], v[70:71], v[166:167]
	v_fma_f64 v[44:45], v[72:73], v[164:165], v[0:1]
	v_mul_lo_u16_sdwa v0, v115, v18 dst_sel:DWORD dst_unused:UNUSED_PAD src0_sel:BYTE_0 src1_sel:DWORD
	v_lshrrev_b16_e32 v70, 9, v0
	v_mul_lo_u16_e32 v0, 27, v70
	v_sub_u16_e32 v0, v115, v0
	v_and_b32_e32 v71, 0xff, v0
	v_lshlrev_b32_e32 v0, 6, v71
	global_load_dwordx4 v[240:243], v0, s[10:11] offset:432
	global_load_dwordx4 v[244:247], v0, s[10:11] offset:416
	;; [unrolled: 1-line block ×3, first 2 shown]
	s_nop 0
	global_load_dwordx4 v[0:3], v0, s[10:11] offset:384
	v_add_f64 v[72:73], v[28:29], -v[56:57]
	s_waitcnt lgkmcnt(0)
	; wave barrier
	s_waitcnt lgkmcnt(0)
	v_fma_f64 v[18:19], v[72:73], s[14:15], v[16:17]
	v_fma_f64 v[16:17], v[72:73], s[16:17], v[16:17]
	s_waitcnt vmcnt(0)
	v_mul_f64 v[14:15], v[76:77], v[2:3]
	v_fma_f64 v[46:47], v[74:75], v[0:1], -v[14:15]
	v_mul_f64 v[14:15], v[74:75], v[2:3]
	v_add_f64 v[74:75], v[30:31], -v[54:55]
	v_fma_f64 v[32:33], v[76:77], v[0:1], v[14:15]
	v_mul_f64 v[14:15], v[142:143], v[250:251]
	v_add_f64 v[76:77], v[172:173], -v[113:114]
	v_fma_f64 v[18:19], v[74:75], s[0:1], v[18:19]
	v_fma_f64 v[16:17], v[74:75], s[18:19], v[16:17]
	v_fma_f64 v[48:49], v[140:141], v[248:249], -v[14:15]
	v_mul_f64 v[14:15], v[140:141], v[250:251]
	v_add_f64 v[76:77], v[24:25], v[76:77]
	v_add_f64 v[140:141], v[113:114], -v[172:173]
	v_fma_f64 v[34:35], v[142:143], v[248:249], v[14:15]
	v_mul_f64 v[14:15], v[162:163], v[246:247]
	v_fma_f64 v[24:25], v[76:77], s[2:3], v[18:19]
	v_fma_f64 v[18:19], v[76:77], s[2:3], v[16:17]
	v_add_f64 v[16:17], v[26:27], v[172:173]
	v_add_f64 v[76:77], v[78:79], -v[26:27]
	v_fma_f64 v[50:51], v[160:161], v[244:245], -v[14:15]
	v_mul_f64 v[14:15], v[160:161], v[246:247]
	v_fma_f64 v[16:17], v[16:17], -0.5, v[20:21]
	v_add_f64 v[76:77], v[76:77], v[140:141]
	v_fma_f64 v[36:37], v[162:163], v[244:245], v[14:15]
	v_mul_f64 v[14:15], v[170:171], v[242:243]
	v_fma_f64 v[52:53], v[168:169], v[240:241], -v[14:15]
	v_mul_f64 v[14:15], v[168:169], v[242:243]
	v_fma_f64 v[38:39], v[170:171], v[240:241], v[14:15]
	v_add_f64 v[14:15], v[20:21], v[26:27]
	v_fma_f64 v[20:21], v[74:75], s[16:17], v[16:17]
	v_fma_f64 v[16:17], v[74:75], s[14:15], v[16:17]
	v_add_f64 v[74:75], v[78:79], -v[113:114]
	v_add_f64 v[14:15], v[14:15], v[78:79]
	v_fma_f64 v[20:21], v[72:73], s[0:1], v[20:21]
	v_fma_f64 v[16:17], v[72:73], s[18:19], v[16:17]
	v_add_f64 v[72:73], v[26:27], -v[172:173]
	v_add_f64 v[78:79], v[56:57], -v[54:55]
	v_add_f64 v[14:15], v[14:15], v[113:114]
	v_fma_f64 v[160:161], v[76:77], s[2:3], v[20:21]
	v_add_f64 v[20:21], v[30:31], v[54:55]
	v_fma_f64 v[140:141], v[76:77], s[2:3], v[16:17]
	v_add_f64 v[76:77], v[28:29], -v[30:31]
	v_add_f64 v[16:17], v[22:23], v[28:29]
	v_add_f64 v[14:15], v[14:15], v[172:173]
	v_fma_f64 v[20:21], v[20:21], -0.5, v[22:23]
	v_add_f64 v[76:77], v[76:77], v[78:79]
	v_add_f64 v[16:17], v[16:17], v[30:31]
	v_fma_f64 v[26:27], v[72:73], s[16:17], v[20:21]
	v_fma_f64 v[20:21], v[72:73], s[14:15], v[20:21]
	v_add_f64 v[16:17], v[16:17], v[54:55]
	v_fma_f64 v[26:27], v[74:75], s[18:19], v[26:27]
	v_fma_f64 v[20:21], v[74:75], s[0:1], v[20:21]
	;; [unrolled: 3-line block ×3, first 2 shown]
	v_add_f64 v[76:77], v[28:29], v[56:57]
	v_add_f64 v[28:29], v[30:31], -v[28:29]
	v_add_f64 v[30:31], v[54:55], -v[56:57]
	;; [unrolled: 1-line block ×3, first 2 shown]
	v_fma_f64 v[22:23], v[76:77], -0.5, v[22:23]
	v_add_f64 v[28:29], v[28:29], v[30:31]
	v_add_f64 v[30:31], v[4:5], -v[44:45]
	v_fma_f64 v[76:77], v[74:75], s[14:15], v[22:23]
	v_fma_f64 v[22:23], v[74:75], s[16:17], v[22:23]
	v_add_f64 v[74:75], v[64:65], -v[62:63]
	v_fma_f64 v[76:77], v[72:73], s[18:19], v[76:77]
	v_fma_f64 v[22:23], v[72:73], s[0:1], v[22:23]
	;; [unrolled: 3-line block ×3, first 2 shown]
	v_add_f64 v[22:23], v[10:11], v[58:59]
	v_add_f64 v[72:73], v[72:73], v[74:75]
	v_add_f64 v[74:75], v[60:61], -v[58:59]
	v_add_f64 v[76:77], v[62:63], -v[64:65]
	v_add_f64 v[22:23], v[22:23], v[60:61]
	v_add_f64 v[74:75], v[74:75], v[76:77]
	;; [unrolled: 1-line block ×5, first 2 shown]
	v_add_f64 v[60:61], v[60:61], -v[62:63]
	v_add_f64 v[62:63], v[4:5], -v[40:41]
	v_fma_f64 v[22:23], v[22:23], -0.5, v[10:11]
	v_fma_f64 v[54:55], v[30:31], s[14:15], v[22:23]
	v_fma_f64 v[22:23], v[30:31], s[16:17], v[22:23]
	;; [unrolled: 1-line block ×6, first 2 shown]
	v_add_f64 v[22:23], v[58:59], v[64:65]
	v_add_f64 v[58:59], v[58:59], -v[64:65]
	v_add_f64 v[64:65], v[44:45], -v[42:43]
	v_fma_f64 v[22:23], v[22:23], -0.5, v[10:11]
	v_add_f64 v[62:63], v[62:63], v[64:65]
	v_fma_f64 v[10:11], v[56:57], s[16:17], v[22:23]
	v_fma_f64 v[22:23], v[56:57], s[14:15], v[22:23]
	;; [unrolled: 1-line block ×6, first 2 shown]
	v_add_f64 v[22:23], v[12:13], v[4:5]
	v_add_f64 v[22:23], v[22:23], v[40:41]
	;; [unrolled: 1-line block ×5, first 2 shown]
	v_fma_f64 v[22:23], v[22:23], -0.5, v[12:13]
	v_fma_f64 v[56:57], v[58:59], s[16:17], v[22:23]
	v_fma_f64 v[22:23], v[58:59], s[14:15], v[22:23]
	;; [unrolled: 1-line block ×6, first 2 shown]
	v_add_f64 v[22:23], v[4:5], v[44:45]
	v_add_f64 v[4:5], v[40:41], -v[4:5]
	v_add_f64 v[40:41], v[42:43], -v[44:45]
	;; [unrolled: 1-line block ×4, first 2 shown]
	v_fma_f64 v[22:23], v[22:23], -0.5, v[12:13]
	v_add_f64 v[4:5], v[4:5], v[40:41]
	v_fma_f64 v[12:13], v[60:61], s[14:15], v[22:23]
	v_fma_f64 v[22:23], v[60:61], s[16:17], v[22:23]
	v_add_f64 v[60:61], v[34:35], -v[36:37]
	v_fma_f64 v[12:13], v[58:59], s[18:19], v[12:13]
	v_fma_f64 v[22:23], v[58:59], s[0:1], v[22:23]
	v_add_f64 v[58:59], v[52:53], -v[50:51]
	v_fma_f64 v[12:13], v[4:5], s[2:3], v[12:13]
	v_fma_f64 v[78:79], v[4:5], s[2:3], v[22:23]
	v_add_f64 v[4:5], v[6:7], v[46:47]
	v_add_f64 v[22:23], v[32:33], -v[38:39]
	v_add_f64 v[58:59], v[44:45], v[58:59]
	v_add_f64 v[4:5], v[4:5], v[48:49]
	;; [unrolled: 1-line block ×5, first 2 shown]
	v_fma_f64 v[4:5], v[4:5], -0.5, v[6:7]
	v_fma_f64 v[42:43], v[22:23], s[14:15], v[4:5]
	v_fma_f64 v[4:5], v[22:23], s[16:17], v[4:5]
	;; [unrolled: 1-line block ×5, first 2 shown]
	v_add_f64 v[42:43], v[46:47], v[52:53]
	v_fma_f64 v[4:5], v[58:59], s[2:3], v[4:5]
	v_add_f64 v[58:59], v[48:49], -v[46:47]
	v_add_f64 v[48:49], v[48:49], -v[50:51]
	;; [unrolled: 1-line block ×3, first 2 shown]
	v_fma_f64 v[6:7], v[42:43], -0.5, v[6:7]
	v_add_f64 v[62:63], v[58:59], v[62:63]
	v_fma_f64 v[42:43], v[60:61], s[16:17], v[6:7]
	v_fma_f64 v[6:7], v[60:61], s[14:15], v[6:7]
	;; [unrolled: 1-line block ×4, first 2 shown]
	v_add_f64 v[22:23], v[46:47], -v[52:53]
	v_add_f64 v[52:53], v[38:39], -v[36:37]
	v_fma_f64 v[58:59], v[62:63], s[2:3], v[42:43]
	v_fma_f64 v[62:63], v[62:63], s[2:3], v[6:7]
	v_add_f64 v[6:7], v[8:9], v[32:33]
	v_add_f64 v[50:51], v[50:51], v[52:53]
	;; [unrolled: 1-line block ×6, first 2 shown]
	v_fma_f64 v[6:7], v[6:7], -0.5, v[8:9]
	v_fma_f64 v[46:47], v[22:23], s[16:17], v[6:7]
	v_fma_f64 v[6:7], v[22:23], s[14:15], v[6:7]
	;; [unrolled: 1-line block ×6, first 2 shown]
	v_add_f64 v[50:51], v[32:33], v[38:39]
	v_add_f64 v[32:33], v[34:35], -v[32:33]
	v_add_f64 v[34:35], v[36:37], -v[38:39]
	v_fma_f64 v[8:9], v[50:51], -0.5, v[8:9]
	v_add_f64 v[32:33], v[32:33], v[34:35]
	v_fma_f64 v[50:51], v[48:49], s[14:15], v[8:9]
	v_fma_f64 v[8:9], v[48:49], s[16:17], v[8:9]
	;; [unrolled: 1-line block ×4, first 2 shown]
	v_cmp_gt_u16_e64 s[0:1], 9, v184
	v_fma_f64 v[60:61], v[32:33], s[2:3], v[50:51]
	v_fma_f64 v[64:65], v[32:33], s[2:3], v[8:9]
	v_mul_u32_u24_e32 v8, 0x87, v66
	v_add_lshl_u32 v8, v8, v67, 4
	ds_write_b128 v8, v[14:17]
	ds_write_b128 v8, v[24:27] offset:432
	ds_write_b128 v8, v[160:163] offset:864
	;; [unrolled: 1-line block ×3, first 2 shown]
	buffer_store_dword v8, off, s[36:39], 0 offset:456 ; 4-byte Folded Spill
	ds_write_b128 v8, v[18:21] offset:1728
	v_mul_u32_u24_e32 v8, 0x87, v68
	v_add_lshl_u32 v8, v8, v69, 4
	ds_write_b128 v8, v[28:31]
	ds_write_b128 v8, v[54:57] offset:432
	ds_write_b128 v8, v[10:13] offset:864
	;; [unrolled: 1-line block ×3, first 2 shown]
	buffer_store_dword v8, off, s[36:39], 0 offset:460 ; 4-byte Folded Spill
	ds_write_b128 v8, v[72:75] offset:1728
	v_mul_u32_u24_e32 v8, 0x87, v70
	v_add_lshl_u32 v113, v8, v71, 4
	ds_write_b128 v113, v[40:43]
	ds_write_b128 v113, v[44:47] offset:432
	ds_write_b128 v113, v[58:61] offset:864
	;; [unrolled: 1-line block ×4, first 2 shown]
	s_waitcnt lgkmcnt(0)
	; wave barrier
	s_waitcnt lgkmcnt(0)
	ds_read_b128 v[12:15], v112
	ds_read_b128 v[236:239], v112 offset:2160
	ds_read_b128 v[228:231], v112 offset:4320
	;; [unrolled: 1-line block ×13, first 2 shown]
	buffer_store_dword v184, off, s[36:39], 0 ; 4-byte Folded Spill
                                        ; implicit-def: $vgpr24_vgpr25
                                        ; implicit-def: $vgpr28_vgpr29
                                        ; implicit-def: $vgpr16_vgpr17
                                        ; implicit-def: $vgpr20_vgpr21
	s_and_saveexec_b64 s[2:3], s[0:1]
	s_cbranch_execz .LBB0_3
; %bb.2:
	ds_read_b128 v[4:7], v112 offset:2016
	ds_read_b128 v[24:27], v112 offset:4176
	;; [unrolled: 1-line block ×7, first 2 shown]
.LBB0_3:
	s_or_b64 exec, exec, s[2:3]
	buffer_load_dword v114, off, s[36:39], 0 ; 4-byte Folded Reload
	v_mov_b32_e32 v33, s11
	s_movk_i32 s2, 0x60
	v_mov_b32_e32 v32, s10
	s_mov_b32 s16, 0xe976ee23
	s_mov_b32 s14, 0x429ad128
	;; [unrolled: 1-line block ×16, first 2 shown]
	s_waitcnt vmcnt(0)
	v_mad_u64_u32 v[32:33], s[2:3], v114, s2, v[32:33]
	s_movk_i32 s2, 0x17a0
	v_add_u32_e32 v114, -9, v114
	global_load_dwordx4 v[184:187], v[32:33], off offset:2160
	global_load_dwordx4 v[196:199], v[32:33], off offset:2144
	global_load_dwordx4 v[200:203], v[32:33], off offset:2128
	global_load_dwordx4 v[208:211], v[32:33], off offset:2112
	v_add_co_u32_e32 v48, vcc, s2, v32
	v_addc_co_u32_e32 v49, vcc, 0, v33, vcc
	v_cndmask_b32_e64 v114, v114, v115, s[0:1]
	v_mul_hi_i32_i24_e32 v115, 0x60, v114
	v_mul_i32_i24_e32 v114, 0x60, v114
	s_mov_b32 s2, 0x36b3c0b5
	s_mov_b32 s3, 0x3fac98ee
	s_waitcnt vmcnt(0) lgkmcnt(12)
	v_mul_f64 v[34:35], v[238:239], v[210:211]
	v_fma_f64 v[56:57], v[236:237], v[208:209], -v[34:35]
	v_mul_f64 v[34:35], v[236:237], v[210:211]
	v_fma_f64 v[62:63], v[238:239], v[208:209], v[34:35]
	s_waitcnt lgkmcnt(11)
	v_mul_f64 v[34:35], v[230:231], v[202:203]
	v_fma_f64 v[58:59], v[228:229], v[200:201], -v[34:35]
	v_mul_f64 v[34:35], v[228:229], v[202:203]
	v_fma_f64 v[64:65], v[230:231], v[200:201], v[34:35]
	s_waitcnt lgkmcnt(10)
	v_mul_f64 v[34:35], v[226:227], v[198:199]
	v_fma_f64 v[60:61], v[224:225], v[196:197], -v[34:35]
	v_mul_f64 v[34:35], v[224:225], v[198:199]
	v_fma_f64 v[66:67], v[226:227], v[196:197], v[34:35]
	global_load_dwordx4 v[224:227], v[32:33], off offset:2192
	global_load_dwordx4 v[228:231], v[32:33], off offset:2176
	s_waitcnt lgkmcnt(9)
	v_mul_f64 v[34:35], v[222:223], v[186:187]
	v_fma_f64 v[68:69], v[220:221], v[184:185], -v[34:35]
	v_mul_f64 v[34:35], v[220:221], v[186:187]
	v_fma_f64 v[70:71], v[222:223], v[184:185], v[34:35]
	s_waitcnt vmcnt(0) lgkmcnt(8)
	v_mul_f64 v[34:35], v[218:219], v[230:231]
	v_fma_f64 v[72:73], v[216:217], v[228:229], -v[34:35]
	v_mul_f64 v[34:35], v[216:217], v[230:231]
	v_fma_f64 v[74:75], v[218:219], v[228:229], v[34:35]
	s_waitcnt lgkmcnt(7)
	v_mul_f64 v[34:35], v[206:207], v[226:227]
	v_fma_f64 v[76:77], v[204:205], v[224:225], -v[34:35]
	v_mul_f64 v[34:35], v[204:205], v[226:227]
	v_fma_f64 v[78:79], v[206:207], v[224:225], v[34:35]
	global_load_dwordx4 v[204:207], v[48:49], off offset:2160
	global_load_dwordx4 v[216:219], v[48:49], off offset:2144
	;; [unrolled: 1-line block ×4, first 2 shown]
	s_waitcnt vmcnt(3) lgkmcnt(2)
	v_mul_f64 v[44:45], v[142:143], v[206:207]
	v_mul_f64 v[46:47], v[140:141], v[206:207]
	s_waitcnt vmcnt(1)
	v_mul_f64 v[36:37], v[188:189], v[222:223]
	s_waitcnt vmcnt(0)
	v_mul_f64 v[32:33], v[234:235], v[238:239]
	v_mul_f64 v[34:35], v[232:233], v[238:239]
	;; [unrolled: 1-line block ×3, first 2 shown]
	v_fma_f64 v[44:45], v[140:141], v[204:205], -v[44:45]
	v_fma_f64 v[46:47], v[142:143], v[204:205], v[46:47]
	v_fma_f64 v[40:41], v[190:191], v[220:221], v[36:37]
	v_fma_f64 v[32:33], v[232:233], v[236:237], -v[32:33]
	v_fma_f64 v[38:39], v[234:235], v[236:237], v[34:35]
	global_load_dwordx4 v[140:143], v[48:49], off offset:2192
	global_load_dwordx4 v[232:235], v[48:49], off offset:2176
	v_mul_f64 v[34:35], v[190:191], v[222:223]
	v_mul_f64 v[36:37], v[174:175], v[218:219]
	v_fma_f64 v[42:43], v[174:175], v[216:217], v[42:43]
	v_add_co_u32_e32 v174, vcc, s10, v114
	v_mov_b32_e32 v114, s11
	v_addc_co_u32_e32 v175, vcc, v114, v115, vcc
	v_fma_f64 v[34:35], v[188:189], v[220:221], -v[34:35]
	v_fma_f64 v[36:37], v[172:173], v[216:217], -v[36:37]
	s_mov_b32 s10, 0x37e14327
	s_mov_b32 s11, 0x3fe948f6
	s_waitcnt vmcnt(1) lgkmcnt(0)
	v_mul_f64 v[52:53], v[162:163], v[142:143]
	s_waitcnt vmcnt(0)
	v_mul_f64 v[48:49], v[170:171], v[234:235]
	v_mul_f64 v[50:51], v[168:169], v[234:235]
	;; [unrolled: 1-line block ×3, first 2 shown]
	v_fma_f64 v[52:53], v[160:161], v[140:141], -v[52:53]
	v_fma_f64 v[48:49], v[168:169], v[232:233], -v[48:49]
	v_fma_f64 v[50:51], v[170:171], v[232:233], v[50:51]
	global_load_dwordx4 v[188:191], v[174:175], off offset:2160
	global_load_dwordx4 v[84:87], v[174:175], off offset:2144
	;; [unrolled: 1-line block ×4, first 2 shown]
	v_fma_f64 v[54:55], v[162:163], v[140:141], v[54:55]
	s_waitcnt vmcnt(3)
	v_mul_f64 v[172:173], v[30:31], v[190:191]
	s_waitcnt vmcnt(0)
	v_mul_f64 v[160:161], v[26:27], v[90:91]
	v_fma_f64 v[172:173], v[28:29], v[188:189], -v[172:173]
	v_mul_f64 v[28:29], v[28:29], v[190:191]
	v_fma_f64 v[160:161], v[24:25], v[88:89], -v[160:161]
	v_mul_f64 v[24:25], v[24:25], v[90:91]
	buffer_store_dword v88, off, s[36:39], 0 offset:512 ; 4-byte Folded Spill
	s_nop 0
	buffer_store_dword v89, off, s[36:39], 0 offset:516 ; 4-byte Folded Spill
	buffer_store_dword v90, off, s[36:39], 0 offset:520 ; 4-byte Folded Spill
	;; [unrolled: 1-line block ×3, first 2 shown]
	v_fma_f64 v[162:163], v[26:27], v[88:89], v[24:25]
	v_mul_f64 v[24:25], v[194:195], v[170:171]
	v_mul_f64 v[26:27], v[192:193], v[170:171]
	v_fma_f64 v[24:25], v[192:193], v[168:169], -v[24:25]
	buffer_store_dword v168, off, s[36:39], 0 offset:496 ; 4-byte Folded Spill
	s_nop 0
	buffer_store_dword v169, off, s[36:39], 0 offset:500 ; 4-byte Folded Spill
	buffer_store_dword v170, off, s[36:39], 0 offset:504 ; 4-byte Folded Spill
	;; [unrolled: 1-line block ×3, first 2 shown]
	v_mul_f64 v[170:171], v[252:253], v[86:87]
	v_fma_f64 v[168:169], v[194:195], v[168:169], v[26:27]
	v_mul_f64 v[26:27], v[254:255], v[86:87]
	v_fma_f64 v[26:27], v[252:253], v[84:85], -v[26:27]
	buffer_store_dword v84, off, s[36:39], 0 offset:480 ; 4-byte Folded Spill
	s_nop 0
	buffer_store_dword v85, off, s[36:39], 0 offset:484 ; 4-byte Folded Spill
	buffer_store_dword v86, off, s[36:39], 0 offset:488 ; 4-byte Folded Spill
	buffer_store_dword v87, off, s[36:39], 0 offset:492 ; 4-byte Folded Spill
	buffer_store_dword v188, off, s[36:39], 0 offset:464 ; 4-byte Folded Spill
	s_nop 0
	buffer_store_dword v189, off, s[36:39], 0 offset:468 ; 4-byte Folded Spill
	buffer_store_dword v190, off, s[36:39], 0 offset:472 ; 4-byte Folded Spill
	;; [unrolled: 1-line block ×3, first 2 shown]
	v_fma_f64 v[170:171], v[254:255], v[84:85], v[170:171]
	global_load_dwordx4 v[84:87], v[174:175], off offset:2192
	global_load_dwordx4 v[88:91], v[174:175], off offset:2176
	v_fma_f64 v[28:29], v[30:31], v[188:189], v[28:29]
	v_add_f64 v[174:175], v[62:63], v[78:79]
	v_add_f64 v[62:63], v[62:63], -v[78:79]
	v_add_f64 v[78:79], v[64:65], v[74:75]
	v_add_f64 v[64:65], v[64:65], -v[74:75]
	;; [unrolled: 2-line block ×4, first 2 shown]
	v_add_f64 v[174:175], v[174:175], -v[74:75]
	v_add_f64 v[192:193], v[66:67], v[64:65]
	v_add_f64 v[252:253], v[66:67], -v[64:65]
	v_add_f64 v[78:79], v[74:75], -v[78:79]
	;; [unrolled: 1-line block ×4, first 2 shown]
	v_add_f64 v[70:71], v[74:75], v[70:71]
	v_add_f64 v[62:63], v[192:193], v[62:63]
	v_mul_f64 v[74:75], v[78:79], s[2:3]
	v_fma_f64 v[74:75], v[188:189], s[20:21], -v[74:75]
	s_waitcnt vmcnt(0)
	v_mul_f64 v[30:31], v[18:19], v[90:91]
	v_fma_f64 v[30:31], v[16:17], v[88:89], -v[30:31]
	v_mul_f64 v[16:17], v[16:17], v[90:91]
	buffer_store_dword v88, off, s[36:39], 0 offset:544 ; 4-byte Folded Spill
	s_nop 0
	buffer_store_dword v89, off, s[36:39], 0 offset:548 ; 4-byte Folded Spill
	buffer_store_dword v90, off, s[36:39], 0 offset:552 ; 4-byte Folded Spill
	buffer_store_dword v91, off, s[36:39], 0 offset:556 ; 4-byte Folded Spill
	v_fma_f64 v[16:17], v[18:19], v[88:89], v[16:17]
	v_mul_f64 v[18:19], v[22:23], v[86:87]
	v_fma_f64 v[18:19], v[20:21], v[84:85], -v[18:19]
	v_mul_f64 v[20:21], v[20:21], v[86:87]
	buffer_store_dword v84, off, s[36:39], 0 offset:528 ; 4-byte Folded Spill
	s_nop 0
	buffer_store_dword v85, off, s[36:39], 0 offset:532 ; 4-byte Folded Spill
	buffer_store_dword v86, off, s[36:39], 0 offset:536 ; 4-byte Folded Spill
	;; [unrolled: 1-line block ×3, first 2 shown]
	v_fma_f64 v[20:21], v[22:23], v[84:85], v[20:21]
	v_add_f64 v[22:23], v[56:57], v[76:77]
	v_add_f64 v[56:57], v[56:57], -v[76:77]
	v_add_f64 v[76:77], v[58:59], v[72:73]
	v_add_f64 v[58:59], v[58:59], -v[72:73]
	;; [unrolled: 2-line block ×4, first 2 shown]
	v_add_f64 v[22:23], v[22:23], -v[72:73]
	v_add_f64 v[76:77], v[72:73], -v[76:77]
	v_add_f64 v[190:191], v[60:61], v[58:59]
	v_add_f64 v[194:195], v[60:61], -v[58:59]
	v_add_f64 v[254:255], v[58:59], -v[56:57]
	;; [unrolled: 1-line block ×3, first 2 shown]
	v_add_f64 v[68:69], v[72:73], v[68:69]
	v_add_f64 v[58:59], v[14:15], v[70:71]
	v_mul_f64 v[14:15], v[174:175], s[10:11]
	v_add_f64 v[72:73], v[190:191], v[56:57]
	v_mul_f64 v[174:175], v[194:195], s[16:17]
	v_mul_f64 v[190:191], v[252:253], s[16:17]
	;; [unrolled: 1-line block ×3, first 2 shown]
	v_add_f64 v[56:57], v[12:13], v[68:69]
	v_mul_f64 v[12:13], v[22:23], s[10:11]
	v_mul_f64 v[22:23], v[76:77], s[2:3]
	;; [unrolled: 1-line block ×3, first 2 shown]
	v_fma_f64 v[70:71], v[70:71], s[18:19], v[58:59]
	v_fma_f64 v[78:79], v[78:79], s[2:3], v[14:15]
	v_fma_f64 v[14:15], v[188:189], s[24:25], -v[14:15]
	v_fma_f64 v[64:65], v[64:65], s[14:15], -v[190:191]
	v_fma_f64 v[68:69], v[68:69], s[18:19], v[56:57]
	v_fma_f64 v[76:77], v[76:77], s[2:3], v[12:13]
	v_fma_f64 v[22:23], v[114:115], s[20:21], -v[22:23]
	v_fma_f64 v[12:13], v[114:115], s[24:25], -v[12:13]
	v_fma_f64 v[114:115], v[60:61], s[26:27], v[174:175]
	v_fma_f64 v[174:175], v[254:255], s[14:15], -v[174:175]
	v_fma_f64 v[60:61], v[60:61], s[28:29], -v[192:193]
	v_fma_f64 v[188:189], v[66:67], s[26:27], v[190:191]
	v_fma_f64 v[66:67], v[66:67], s[28:29], -v[194:195]
	v_add_f64 v[190:191], v[76:77], v[68:69]
	v_add_f64 v[192:193], v[78:79], v[70:71]
	;; [unrolled: 1-line block ×4, first 2 shown]
	v_fma_f64 v[114:115], v[72:73], s[22:23], v[114:115]
	v_fma_f64 v[76:77], v[72:73], s[22:23], v[174:175]
	;; [unrolled: 1-line block ×4, first 2 shown]
	v_add_f64 v[12:13], v[12:13], v[68:69]
	v_fma_f64 v[188:189], v[62:63], s[22:23], v[188:189]
	v_fma_f64 v[194:195], v[62:63], s[22:23], v[66:67]
	v_add_f64 v[74:75], v[74:75], v[70:71]
	v_add_f64 v[62:63], v[192:193], -v[114:115]
	v_add_f64 v[68:69], v[22:23], -v[78:79]
	;; [unrolled: 1-line block ×3, first 2 shown]
	v_add_f64 v[72:73], v[78:79], v[22:23]
	v_add_f64 v[78:79], v[174:175], v[14:15]
	;; [unrolled: 1-line block ×5, first 2 shown]
	v_add_f64 v[32:33], v[32:33], -v[52:53]
	v_add_f64 v[38:39], v[38:39], -v[54:55]
	v_add_f64 v[52:53], v[34:35], v[48:49]
	v_add_f64 v[54:55], v[40:41], v[50:51]
	v_add_f64 v[34:35], v[34:35], -v[48:49]
	v_add_f64 v[40:41], v[40:41], -v[50:51]
	v_add_f64 v[48:49], v[36:37], v[44:45]
	v_add_f64 v[50:51], v[42:43], v[46:47]
	;; [unrolled: 4-line block ×3, first 2 shown]
	v_add_f64 v[60:61], v[188:189], v[190:191]
	v_add_f64 v[64:65], v[194:195], v[12:13]
	v_add_f64 v[70:71], v[76:77], v[74:75]
	v_add_f64 v[74:75], v[74:75], -v[76:77]
	v_add_f64 v[76:77], v[12:13], -v[194:195]
	;; [unrolled: 1-line block ×8, first 2 shown]
	v_add_f64 v[190:191], v[36:37], v[34:35]
	v_add_f64 v[192:193], v[42:43], v[40:41]
	v_add_f64 v[194:195], v[36:37], -v[34:35]
	v_add_f64 v[252:253], v[42:43], -v[40:41]
	v_add_f64 v[254:255], v[34:35], -v[32:33]
	v_add_f64 v[44:45], v[48:49], v[44:45]
	v_add_f64 v[46:47], v[50:51], v[46:47]
	v_add_f64 v[54:55], v[50:51], -v[54:55]
	v_add_f64 v[36:37], v[32:33], -v[36:37]
	;; [unrolled: 1-line block ×4, first 2 shown]
	v_add_f64 v[48:49], v[190:191], v[32:33]
	v_add_f64 v[38:39], v[192:193], v[38:39]
	;; [unrolled: 1-line block ×4, first 2 shown]
	v_mul_f64 v[8:9], v[22:23], s[10:11]
	v_mul_f64 v[10:11], v[114:115], s[10:11]
	v_mul_f64 v[22:23], v[52:53], s[2:3]
	v_mul_f64 v[114:115], v[194:195], s[16:17]
	v_mul_f64 v[190:191], v[252:253], s[16:17]
	v_mul_f64 v[192:193], v[254:255], s[14:15]
	v_mul_f64 v[50:51], v[54:55], s[2:3]
	v_mul_f64 v[194:195], v[40:41], s[14:15]
	v_fma_f64 v[44:45], v[44:45], s[18:19], v[32:33]
	v_fma_f64 v[46:47], v[46:47], s[18:19], v[34:35]
	;; [unrolled: 1-line block ×4, first 2 shown]
	v_fma_f64 v[22:23], v[174:175], s[20:21], -v[22:23]
	v_fma_f64 v[8:9], v[174:175], s[24:25], -v[8:9]
	;; [unrolled: 1-line block ×3, first 2 shown]
	v_fma_f64 v[174:175], v[36:37], s[26:27], v[114:115]
	v_fma_f64 v[114:115], v[254:255], s[14:15], -v[114:115]
	v_fma_f64 v[40:41], v[40:41], s[14:15], -v[190:191]
	;; [unrolled: 1-line block ×4, first 2 shown]
	v_fma_f64 v[188:189], v[42:43], s[26:27], v[190:191]
	v_fma_f64 v[42:43], v[42:43], s[28:29], -v[194:195]
	v_add_f64 v[190:191], v[52:53], v[44:45]
	v_add_f64 v[192:193], v[54:55], v[46:47]
	;; [unrolled: 1-line block ×4, first 2 shown]
	v_fma_f64 v[52:53], v[48:49], s[22:23], v[114:115]
	v_fma_f64 v[54:55], v[38:39], s[22:23], v[40:41]
	;; [unrolled: 1-line block ×3, first 2 shown]
	v_add_f64 v[8:9], v[8:9], v[44:45]
	v_fma_f64 v[174:175], v[48:49], s[22:23], v[174:175]
	v_fma_f64 v[194:195], v[38:39], s[22:23], v[42:43]
	v_add_f64 v[50:51], v[50:51], v[46:47]
	v_fma_f64 v[188:189], v[38:39], s[22:23], v[188:189]
	v_add_f64 v[44:45], v[22:23], -v[54:55]
	v_add_f64 v[42:43], v[10:11], -v[114:115]
	v_add_f64 v[48:49], v[54:55], v[22:23]
	v_add_f64 v[54:55], v[114:115], v[10:11]
	;; [unrolled: 1-line block ×4, first 2 shown]
	v_add_f64 v[18:19], v[160:161], -v[18:19]
	v_add_f64 v[20:21], v[162:163], -v[20:21]
	v_add_f64 v[160:161], v[24:25], v[30:31]
	v_add_f64 v[162:163], v[168:169], v[16:17]
	v_add_f64 v[24:25], v[24:25], -v[30:31]
	v_add_f64 v[16:17], v[168:169], -v[16:17]
	v_add_f64 v[30:31], v[26:27], v[172:173]
	v_add_f64 v[168:169], v[170:171], v[28:29]
	;; [unrolled: 4-line block ×3, first 2 shown]
	v_add_f64 v[36:37], v[188:189], v[190:191]
	v_add_f64 v[38:39], v[192:193], -v[174:175]
	v_add_f64 v[40:41], v[194:195], v[8:9]
	v_add_f64 v[46:47], v[52:53], v[50:51]
	v_add_f64 v[50:51], v[50:51], -v[52:53]
	v_add_f64 v[52:53], v[8:9], -v[194:195]
	;; [unrolled: 1-line block ×3, first 2 shown]
	v_add_f64 v[10:11], v[174:175], v[192:193]
	v_add_f64 v[174:175], v[160:161], -v[22:23]
	v_add_f64 v[188:189], v[162:163], -v[114:115]
	;; [unrolled: 1-line block ×6, first 2 shown]
	v_add_f64 v[190:191], v[26:27], v[24:25]
	v_add_f64 v[192:193], v[28:29], v[16:17]
	v_add_f64 v[194:195], v[26:27], -v[24:25]
	v_add_f64 v[252:253], v[28:29], -v[16:17]
	;; [unrolled: 1-line block ×4, first 2 shown]
	v_add_f64 v[170:171], v[30:31], v[170:171]
	v_add_f64 v[168:169], v[168:169], v[172:173]
	v_add_f64 v[26:27], v[18:19], -v[26:27]
	v_add_f64 v[254:255], v[20:21], -v[28:29]
	v_add_f64 v[18:19], v[190:191], v[18:19]
	v_add_f64 v[20:21], v[192:193], v[20:21]
	v_mul_f64 v[172:173], v[194:195], s[16:17]
	v_mul_f64 v[190:191], v[252:253], s[16:17]
	v_add_f64 v[28:29], v[4:5], v[170:171]
	v_add_f64 v[30:31], v[6:7], v[168:169]
	v_mul_f64 v[4:5], v[22:23], s[10:11]
	v_mul_f64 v[6:7], v[114:115], s[10:11]
	;; [unrolled: 1-line block ×6, first 2 shown]
	v_fma_f64 v[170:171], v[170:171], s[18:19], v[28:29]
	v_fma_f64 v[168:169], v[168:169], s[18:19], v[30:31]
	;; [unrolled: 1-line block ×4, first 2 shown]
	v_fma_f64 v[22:23], v[174:175], s[20:21], -v[22:23]
	v_fma_f64 v[114:115], v[188:189], s[20:21], -v[114:115]
	;; [unrolled: 1-line block ×4, first 2 shown]
	v_fma_f64 v[174:175], v[26:27], s[26:27], v[172:173]
	v_fma_f64 v[188:189], v[254:255], s[26:27], v[190:191]
	v_fma_f64 v[24:25], v[24:25], s[14:15], -v[172:173]
	v_fma_f64 v[16:17], v[16:17], s[14:15], -v[190:191]
	;; [unrolled: 1-line block ×4, first 2 shown]
	v_add_f64 v[190:191], v[160:161], v[170:171]
	v_add_f64 v[192:193], v[162:163], v[168:169]
	;; [unrolled: 1-line block ×6, first 2 shown]
	v_fma_f64 v[174:175], v[18:19], s[22:23], v[174:175]
	v_fma_f64 v[188:189], v[20:21], s[22:23], v[188:189]
	;; [unrolled: 1-line block ×6, first 2 shown]
	v_add_f64 v[86:87], v[192:193], -v[174:175]
	v_add_f64 v[84:85], v[188:189], v[190:191]
	v_add_f64 v[162:163], v[24:25], v[114:115]
	v_add_f64 v[160:161], v[22:23], -v[16:17]
	v_add_f64 v[170:171], v[6:7], -v[26:27]
	v_add_f64 v[168:169], v[20:21], v[4:5]
	v_add_f64 v[16:17], v[16:17], v[22:23]
	v_add_f64 v[18:19], v[114:115], -v[24:25]
	v_add_f64 v[20:21], v[4:5], -v[20:21]
	v_add_f64 v[22:23], v[26:27], v[6:7]
	v_add_f64 v[24:25], v[190:191], -v[188:189]
	v_add_f64 v[26:27], v[174:175], v[192:193]
	buffer_store_dword v84, off, s[36:39], 0 offset:4 ; 4-byte Folded Spill
	s_nop 0
	buffer_store_dword v85, off, s[36:39], 0 offset:8 ; 4-byte Folded Spill
	buffer_store_dword v86, off, s[36:39], 0 offset:12 ; 4-byte Folded Spill
	buffer_store_dword v87, off, s[36:39], 0 offset:16 ; 4-byte Folded Spill
	ds_write_b128 v112, v[56:59]
	ds_write_b128 v112, v[60:63] offset:2160
	ds_write_b128 v112, v[64:67] offset:4320
	;; [unrolled: 1-line block ×13, first 2 shown]
	s_and_saveexec_b64 s[2:3], s[0:1]
	s_cbranch_execz .LBB0_5
; %bb.4:
	ds_write_b128 v112, v[28:31] offset:2016
	buffer_load_dword v4, off, s[36:39], 0 offset:4 ; 4-byte Folded Reload
	buffer_load_dword v5, off, s[36:39], 0 offset:8 ; 4-byte Folded Reload
	;; [unrolled: 1-line block ×4, first 2 shown]
	s_waitcnt vmcnt(0)
	ds_write_b128 v112, v[4:7] offset:4176
	ds_write_b128 v112, v[168:171] offset:6336
	;; [unrolled: 1-line block ×6, first 2 shown]
.LBB0_5:
	s_or_b64 exec, exec, s[2:3]
	buffer_load_dword v4, off, s[36:39], 0  ; 4-byte Folded Reload
	s_movk_i32 s2, 0x3b10
	s_waitcnt lgkmcnt(0)
	; wave barrier
	s_waitcnt lgkmcnt(0)
	ds_read_b128 v[8:11], v112
	s_mov_b32 s10, 0x134454ff
	s_mov_b32 s11, 0xbfee6f0e
	;; [unrolled: 1-line block ×5, first 2 shown]
	s_waitcnt vmcnt(0)
	v_lshlrev_b32_e32 v4, 4, v4
	v_add_co_u32_e32 v30, vcc, s8, v4
	v_mov_b32_e32 v4, s9
	v_addc_co_u32_e32 v31, vcc, 0, v4, vcc
	v_add_co_u32_e32 v28, vcc, s2, v30
	v_addc_co_u32_e32 v29, vcc, 0, v31, vcc
	s_movk_i32 s2, 0x3000
	v_add_co_u32_e32 v4, vcc, s2, v30
	v_addc_co_u32_e32 v5, vcc, 0, v31, vcc
	global_load_dwordx4 v[12:15], v[4:5], off offset:2832
	s_movk_i32 s2, 0x4000
	s_mov_b32 s9, 0x3febb67a
	s_waitcnt vmcnt(0) lgkmcnt(0)
	v_mul_f64 v[4:5], v[10:11], v[14:15]
	v_fma_f64 v[32:33], v[8:9], v[12:13], -v[4:5]
	v_mul_f64 v[4:5], v[8:9], v[14:15]
	v_fma_f64 v[34:35], v[10:11], v[12:13], v[4:5]
	v_add_co_u32_e32 v4, vcc, s2, v30
	v_addc_co_u32_e32 v5, vcc, 0, v31, vcc
	global_load_dwordx4 v[12:15], v[4:5], off offset:3776
	ds_read_b128 v[8:11], v112 offset:5040
	s_movk_i32 s2, 0x6000
	ds_write_b128 v112, v[32:35]
	s_waitcnt vmcnt(0) lgkmcnt(1)
	v_mul_f64 v[4:5], v[10:11], v[14:15]
	v_fma_f64 v[32:33], v[8:9], v[12:13], -v[4:5]
	v_mul_f64 v[4:5], v[8:9], v[14:15]
	v_fma_f64 v[34:35], v[10:11], v[12:13], v[4:5]
	v_add_co_u32_e32 v4, vcc, s2, v30
	v_addc_co_u32_e32 v5, vcc, 0, v31, vcc
	global_load_dwordx4 v[12:15], v[4:5], off offset:624
	ds_read_b128 v[8:11], v112 offset:10080
	s_movk_i32 s2, 0x5000
	ds_write_b128 v112, v[32:35] offset:5040
	s_waitcnt vmcnt(0) lgkmcnt(1)
	v_mul_f64 v[6:7], v[10:11], v[14:15]
	v_fma_f64 v[32:33], v[8:9], v[12:13], -v[6:7]
	v_mul_f64 v[6:7], v[8:9], v[14:15]
	v_fma_f64 v[34:35], v[10:11], v[12:13], v[6:7]
	global_load_dwordx4 v[12:15], v[28:29], off offset:1008
	ds_read_b128 v[8:11], v112 offset:1008
	ds_write_b128 v112, v[32:35] offset:10080
	s_waitcnt vmcnt(0) lgkmcnt(1)
	v_mul_f64 v[6:7], v[10:11], v[14:15]
	v_fma_f64 v[32:33], v[8:9], v[12:13], -v[6:7]
	v_mul_f64 v[6:7], v[8:9], v[14:15]
	v_fma_f64 v[34:35], v[10:11], v[12:13], v[6:7]
	v_add_co_u32_e32 v6, vcc, s2, v30
	v_addc_co_u32_e32 v7, vcc, 0, v31, vcc
	global_load_dwordx4 v[12:15], v[6:7], off offset:688
	ds_read_b128 v[8:11], v112 offset:6048
	s_movk_i32 s2, 0x7000
	ds_write_b128 v112, v[32:35] offset:1008
	s_waitcnt vmcnt(0) lgkmcnt(1)
	v_mul_f64 v[32:33], v[10:11], v[14:15]
	v_fma_f64 v[32:33], v[8:9], v[12:13], -v[32:33]
	v_mul_f64 v[8:9], v[8:9], v[14:15]
	v_fma_f64 v[34:35], v[10:11], v[12:13], v[8:9]
	global_load_dwordx4 v[12:15], v[4:5], off offset:1632
	ds_read_b128 v[8:11], v112 offset:11088
	ds_write_b128 v112, v[32:35] offset:6048
	s_waitcnt vmcnt(0) lgkmcnt(1)
	v_mul_f64 v[32:33], v[10:11], v[14:15]
	v_fma_f64 v[32:33], v[8:9], v[12:13], -v[32:33]
	v_mul_f64 v[8:9], v[8:9], v[14:15]
	v_fma_f64 v[34:35], v[10:11], v[12:13], v[8:9]
	global_load_dwordx4 v[12:15], v[28:29], off offset:2016
	ds_read_b128 v[8:11], v112 offset:2016
	;; [unrolled: 8-line block ×9, first 2 shown]
	ds_write_b128 v112, v[32:35] offset:4032
	s_waitcnt vmcnt(0) lgkmcnt(1)
	v_mul_f64 v[4:5], v[10:11], v[14:15]
	v_fma_f64 v[32:33], v[8:9], v[12:13], -v[4:5]
	v_mul_f64 v[4:5], v[8:9], v[14:15]
	v_fma_f64 v[34:35], v[10:11], v[12:13], v[4:5]
	v_add_co_u32_e32 v4, vcc, s2, v30
	v_addc_co_u32_e32 v5, vcc, 0, v31, vcc
	global_load_dwordx4 v[12:15], v[4:5], off offset:560
	ds_read_b128 v[8:11], v112 offset:14112
	s_mov_b32 s2, 0xe8584caa
	ds_write_b128 v112, v[32:35] offset:9072
	s_mov_b32 s3, 0xbfebb67a
	s_mov_b32 s8, s2
	s_waitcnt vmcnt(0) lgkmcnt(1)
	v_mul_f64 v[4:5], v[10:11], v[14:15]
	v_fma_f64 v[28:29], v[8:9], v[12:13], -v[4:5]
	v_mul_f64 v[4:5], v[8:9], v[14:15]
	v_fma_f64 v[30:31], v[10:11], v[12:13], v[4:5]
	ds_write_b128 v112, v[28:31] offset:14112
	s_waitcnt lgkmcnt(0)
	; wave barrier
	s_waitcnt lgkmcnt(0)
	ds_read_b128 v[8:11], v112
	ds_read_b128 v[12:15], v112 offset:5040
	ds_read_b128 v[28:31], v112 offset:10080
	;; [unrolled: 1-line block ×14, first 2 shown]
	s_waitcnt lgkmcnt(13)
	v_add_f64 v[4:5], v[8:9], v[12:13]
	s_waitcnt lgkmcnt(12)
	v_add_f64 v[6:7], v[14:15], -v[30:31]
	s_waitcnt lgkmcnt(0)
	; wave barrier
	s_waitcnt lgkmcnt(0)
	v_add_f64 v[172:173], v[4:5], v[28:29]
	v_add_f64 v[4:5], v[12:13], v[28:29]
	v_add_f64 v[12:13], v[12:13], -v[28:29]
	v_fma_f64 v[4:5], v[4:5], -0.5, v[8:9]
	v_fma_f64 v[8:9], v[6:7], s[2:3], v[4:5]
	v_fma_f64 v[4:5], v[6:7], s[8:9], v[4:5]
	v_add_f64 v[6:7], v[10:11], v[14:15]
	v_add_f64 v[174:175], v[6:7], v[30:31]
	;; [unrolled: 1-line block ×4, first 2 shown]
	v_add_f64 v[30:31], v[38:39], -v[42:43]
	v_fma_f64 v[6:7], v[6:7], -0.5, v[10:11]
	v_fma_f64 v[14:15], v[14:15], -0.5, v[32:33]
	v_fma_f64 v[10:11], v[12:13], s[8:9], v[6:7]
	v_fma_f64 v[6:7], v[12:13], s[2:3], v[6:7]
	v_add_f64 v[12:13], v[32:33], v[36:37]
	v_fma_f64 v[28:29], v[30:31], s[2:3], v[14:15]
	v_fma_f64 v[32:33], v[30:31], s[8:9], v[14:15]
	v_add_f64 v[14:15], v[34:35], v[38:39]
	v_add_f64 v[30:31], v[38:39], v[42:43]
	v_add_f64 v[38:39], v[48:49], v[52:53]
	v_add_f64 v[36:37], v[36:37], -v[40:41]
	v_add_f64 v[12:13], v[12:13], v[40:41]
	v_add_f64 v[14:15], v[14:15], v[42:43]
	v_fma_f64 v[34:35], v[30:31], -0.5, v[34:35]
	v_fma_f64 v[38:39], v[38:39], -0.5, v[44:45]
	v_add_f64 v[42:43], v[50:51], -v[54:55]
	v_fma_f64 v[30:31], v[36:37], s[8:9], v[34:35]
	v_fma_f64 v[34:35], v[36:37], s[2:3], v[34:35]
	v_add_f64 v[36:37], v[44:45], v[48:49]
	v_fma_f64 v[40:41], v[42:43], s[2:3], v[38:39]
	v_fma_f64 v[44:45], v[42:43], s[8:9], v[38:39]
	v_add_f64 v[38:39], v[46:47], v[50:51]
	v_add_f64 v[42:43], v[50:51], v[54:55]
	v_add_f64 v[50:51], v[60:61], v[64:65]
	v_add_f64 v[48:49], v[48:49], -v[52:53]
	v_add_f64 v[36:37], v[36:37], v[52:53]
	v_add_f64 v[38:39], v[38:39], v[54:55]
	v_fma_f64 v[46:47], v[42:43], -0.5, v[46:47]
	v_fma_f64 v[50:51], v[50:51], -0.5, v[56:57]
	v_add_f64 v[54:55], v[62:63], -v[66:67]
	;; [unrolled: 14-line block ×3, first 2 shown]
	v_fma_f64 v[54:55], v[60:61], s[8:9], v[58:59]
	v_fma_f64 v[58:59], v[60:61], s[2:3], v[58:59]
	v_add_f64 v[60:61], v[68:69], v[72:73]
	v_fma_f64 v[64:65], v[66:67], s[2:3], v[62:63]
	v_fma_f64 v[68:69], v[66:67], s[8:9], v[62:63]
	v_add_f64 v[66:67], v[74:75], v[78:79]
	v_add_f64 v[62:63], v[70:71], v[74:75]
	v_add_f64 v[72:73], v[72:73], -v[76:77]
	v_add_f64 v[60:61], v[60:61], v[76:77]
	v_fma_f64 v[70:71], v[66:67], -0.5, v[70:71]
	v_add_f64 v[62:63], v[62:63], v[78:79]
	v_fma_f64 v[66:67], v[72:73], s[8:9], v[70:71]
	v_fma_f64 v[70:71], v[72:73], s[2:3], v[70:71]
	buffer_load_dword v72, off, s[36:39], 0 offset:268 ; 4-byte Folded Reload
	s_waitcnt vmcnt(0)
	ds_write_b128 v72, v[172:175]
	ds_write_b128 v72, v[8:11] offset:16
	ds_write_b128 v72, v[4:7] offset:32
	buffer_load_dword v4, off, s[36:39], 0 offset:272 ; 4-byte Folded Reload
	s_waitcnt vmcnt(0)
	ds_write_b128 v4, v[12:15]
	ds_write_b128 v4, v[28:31] offset:16
	ds_write_b128 v4, v[32:35] offset:32
	;; [unrolled: 5-line block ×5, first 2 shown]
	s_waitcnt lgkmcnt(0)
	; wave barrier
	s_waitcnt lgkmcnt(0)
	ds_read_b128 v[4:7], v112
	ds_read_b128 v[8:11], v112 offset:5040
	ds_read_b128 v[12:15], v112 offset:10080
	;; [unrolled: 1-line block ×14, first 2 shown]
	buffer_load_dword v172, off, s[36:39], 0 offset:304 ; 4-byte Folded Reload
	buffer_load_dword v173, off, s[36:39], 0 offset:308 ; 4-byte Folded Reload
	;; [unrolled: 1-line block ×4, first 2 shown]
	s_waitcnt vmcnt(0) lgkmcnt(13)
	v_mul_f64 v[76:77], v[174:175], v[10:11]
	v_fma_f64 v[76:77], v[172:173], v[8:9], v[76:77]
	v_mul_f64 v[8:9], v[174:175], v[8:9]
	v_fma_f64 v[78:79], v[172:173], v[10:11], -v[8:9]
	buffer_load_dword v172, off, s[36:39], 0 offset:288 ; 4-byte Folded Reload
	buffer_load_dword v173, off, s[36:39], 0 offset:292 ; 4-byte Folded Reload
	;; [unrolled: 1-line block ×4, first 2 shown]
	s_waitcnt vmcnt(0) lgkmcnt(12)
	v_mul_f64 v[8:9], v[174:175], v[14:15]
	v_fma_f64 v[114:115], v[172:173], v[12:13], v[8:9]
	v_mul_f64 v[8:9], v[174:175], v[12:13]
	buffer_load_dword v10, off, s[36:39], 0 offset:336 ; 4-byte Folded Reload
	buffer_load_dword v11, off, s[36:39], 0 offset:340 ; 4-byte Folded Reload
	;; [unrolled: 1-line block ×4, first 2 shown]
	v_fma_f64 v[14:15], v[172:173], v[14:15], -v[8:9]
	s_waitcnt vmcnt(0) lgkmcnt(10)
	v_mul_f64 v[8:9], v[12:13], v[34:35]
	v_fma_f64 v[172:173], v[10:11], v[32:33], v[8:9]
	v_mul_f64 v[8:9], v[12:13], v[32:33]
	v_add_f64 v[32:33], v[76:77], -v[114:115]
	v_fma_f64 v[174:175], v[10:11], v[34:35], -v[8:9]
	buffer_load_dword v10, off, s[36:39], 0 offset:320 ; 4-byte Folded Reload
	buffer_load_dword v11, off, s[36:39], 0 offset:324 ; 4-byte Folded Reload
	;; [unrolled: 1-line block ×4, first 2 shown]
	s_waitcnt vmcnt(0) lgkmcnt(9)
	v_mul_f64 v[8:9], v[12:13], v[38:39]
	v_fma_f64 v[188:189], v[10:11], v[36:37], v[8:9]
	v_mul_f64 v[8:9], v[12:13], v[36:37]
	v_add_f64 v[34:35], v[172:173], v[188:189]
	v_fma_f64 v[38:39], v[10:11], v[38:39], -v[8:9]
	buffer_load_dword v10, off, s[36:39], 0 offset:368 ; 4-byte Folded Reload
	buffer_load_dword v11, off, s[36:39], 0 offset:372 ; 4-byte Folded Reload
	;; [unrolled: 1-line block ×4, first 2 shown]
	v_fma_f64 v[34:35], v[34:35], -0.5, v[28:29]
	v_add_f64 v[36:37], v[174:175], -v[38:39]
	s_waitcnt vmcnt(0) lgkmcnt(7)
	v_mul_f64 v[8:9], v[12:13], v[46:47]
	v_fma_f64 v[190:191], v[10:11], v[44:45], v[8:9]
	v_mul_f64 v[8:9], v[12:13], v[44:45]
	v_add_f64 v[44:45], v[172:173], -v[188:189]
	v_fma_f64 v[192:193], v[10:11], v[46:47], -v[8:9]
	buffer_load_dword v10, off, s[36:39], 0 offset:352 ; 4-byte Folded Reload
	buffer_load_dword v11, off, s[36:39], 0 offset:356 ; 4-byte Folded Reload
	;; [unrolled: 1-line block ×4, first 2 shown]
	s_waitcnt vmcnt(0) lgkmcnt(6)
	v_mul_f64 v[8:9], v[12:13], v[50:51]
	v_fma_f64 v[194:195], v[10:11], v[48:49], v[8:9]
	v_mul_f64 v[8:9], v[12:13], v[48:49]
	v_add_f64 v[46:47], v[190:191], v[194:195]
	v_fma_f64 v[50:51], v[10:11], v[50:51], -v[8:9]
	buffer_load_dword v10, off, s[36:39], 0 offset:440 ; 4-byte Folded Reload
	buffer_load_dword v11, off, s[36:39], 0 offset:444 ; 4-byte Folded Reload
	;; [unrolled: 1-line block ×4, first 2 shown]
	v_fma_f64 v[46:47], v[46:47], -0.5, v[40:41]
	v_add_f64 v[48:49], v[192:193], -v[50:51]
	s_waitcnt vmcnt(0) lgkmcnt(4)
	v_mul_f64 v[8:9], v[12:13], v[58:59]
	v_fma_f64 v[252:253], v[10:11], v[56:57], v[8:9]
	v_mul_f64 v[8:9], v[12:13], v[56:57]
	v_add_f64 v[56:57], v[190:191], -v[194:195]
	v_fma_f64 v[88:89], v[10:11], v[58:59], -v[8:9]
	buffer_load_dword v10, off, s[36:39], 0 offset:424 ; 4-byte Folded Reload
	buffer_load_dword v11, off, s[36:39], 0 offset:428 ; 4-byte Folded Reload
	;; [unrolled: 1-line block ×4, first 2 shown]
	s_waitcnt lgkmcnt(0)
	; wave barrier
	s_waitcnt vmcnt(0) lgkmcnt(0)
	v_mul_f64 v[8:9], v[12:13], v[62:63]
	v_fma_f64 v[90:91], v[10:11], v[60:61], v[8:9]
	v_mul_f64 v[8:9], v[12:13], v[60:61]
	v_add_f64 v[12:13], v[78:79], -v[14:15]
	v_add_f64 v[58:59], v[252:253], v[90:91]
	v_fma_f64 v[62:63], v[10:11], v[62:63], -v[8:9]
	v_mul_f64 v[8:9], v[98:99], v[70:71]
	v_add_f64 v[10:11], v[76:77], v[114:115]
	v_fma_f64 v[58:59], v[58:59], -0.5, v[52:53]
	v_add_f64 v[60:61], v[88:89], -v[62:63]
	v_fma_f64 v[84:85], v[96:97], v[68:69], v[8:9]
	v_mul_f64 v[8:9], v[98:99], v[68:69]
	v_fma_f64 v[10:11], v[10:11], -0.5, v[4:5]
	v_add_f64 v[68:69], v[252:253], -v[90:91]
	v_fma_f64 v[86:87], v[96:97], v[70:71], -v[8:9]
	v_mul_f64 v[8:9], v[94:95], v[74:75]
	v_fma_f64 v[96:97], v[92:93], v[72:73], v[8:9]
	v_mul_f64 v[8:9], v[94:95], v[72:73]
	v_add_f64 v[70:71], v[84:85], v[96:97]
	v_fma_f64 v[74:75], v[92:93], v[74:75], -v[8:9]
	v_add_f64 v[8:9], v[4:5], v[76:77]
	v_fma_f64 v[4:5], v[12:13], s[2:3], v[10:11]
	v_fma_f64 v[12:13], v[12:13], s[8:9], v[10:11]
	v_add_f64 v[10:11], v[6:7], v[78:79]
	v_add_f64 v[76:77], v[84:85], -v[96:97]
	v_fma_f64 v[70:71], v[70:71], -0.5, v[64:65]
	v_add_f64 v[72:73], v[86:87], -v[74:75]
	v_add_f64 v[8:9], v[8:9], v[114:115]
	v_add_f64 v[10:11], v[10:11], v[14:15]
	v_add_f64 v[14:15], v[78:79], v[14:15]
	v_fma_f64 v[14:15], v[14:15], -0.5, v[6:7]
	v_fma_f64 v[6:7], v[32:33], s[8:9], v[14:15]
	v_fma_f64 v[14:15], v[32:33], s[2:3], v[14:15]
	v_add_f64 v[32:33], v[28:29], v[172:173]
	v_fma_f64 v[28:29], v[36:37], s[2:3], v[34:35]
	v_fma_f64 v[36:37], v[36:37], s[8:9], v[34:35]
	v_add_f64 v[34:35], v[30:31], v[174:175]
	v_add_f64 v[32:33], v[32:33], v[188:189]
	v_add_f64 v[34:35], v[34:35], v[38:39]
	v_add_f64 v[38:39], v[174:175], v[38:39]
	v_fma_f64 v[38:39], v[38:39], -0.5, v[30:31]
	v_fma_f64 v[30:31], v[44:45], s[8:9], v[38:39]
	v_fma_f64 v[38:39], v[44:45], s[2:3], v[38:39]
	v_add_f64 v[44:45], v[40:41], v[190:191]
	v_fma_f64 v[40:41], v[48:49], s[2:3], v[46:47]
	v_fma_f64 v[48:49], v[48:49], s[8:9], v[46:47]
	v_add_f64 v[46:47], v[42:43], v[192:193]
	;; [unrolled: 10-line block ×4, first 2 shown]
	v_add_f64 v[68:69], v[68:69], v[96:97]
	v_add_f64 v[70:71], v[70:71], v[74:75]
	;; [unrolled: 1-line block ×3, first 2 shown]
	v_fma_f64 v[74:75], v[74:75], -0.5, v[66:67]
	v_fma_f64 v[66:67], v[76:77], s[8:9], v[74:75]
	v_fma_f64 v[74:75], v[76:77], s[2:3], v[74:75]
	buffer_load_dword v76, off, s[36:39], 0 offset:384 ; 4-byte Folded Reload
	s_waitcnt vmcnt(0)
	ds_write_b128 v76, v[8:11]
	ds_write_b128 v76, v[4:7] offset:48
	ds_write_b128 v76, v[12:15] offset:96
	buffer_load_dword v4, off, s[36:39], 0 offset:388 ; 4-byte Folded Reload
	s_waitcnt vmcnt(0)
	ds_write_b128 v4, v[32:35]
	ds_write_b128 v4, v[28:31] offset:48
	ds_write_b128 v4, v[36:39] offset:96
	;; [unrolled: 5-line block ×5, first 2 shown]
	s_waitcnt lgkmcnt(0)
	; wave barrier
	s_waitcnt lgkmcnt(0)
	ds_read_b128 v[4:7], v112
	ds_read_b128 v[8:11], v112 offset:5040
	ds_read_b128 v[12:15], v112 offset:10080
	;; [unrolled: 1-line block ×14, first 2 shown]
	s_waitcnt lgkmcnt(13)
	v_mul_f64 v[76:77], v[106:107], v[10:11]
	s_waitcnt lgkmcnt(0)
	; wave barrier
	s_waitcnt lgkmcnt(0)
	v_fma_f64 v[76:77], v[104:105], v[8:9], v[76:77]
	v_mul_f64 v[8:9], v[106:107], v[8:9]
	v_fma_f64 v[78:79], v[104:105], v[10:11], -v[8:9]
	v_mul_f64 v[8:9], v[102:103], v[14:15]
	v_fma_f64 v[84:85], v[100:101], v[12:13], v[8:9]
	v_mul_f64 v[8:9], v[102:103], v[12:13]
	v_add_f64 v[10:11], v[76:77], v[84:85]
	v_fma_f64 v[14:15], v[100:101], v[14:15], -v[8:9]
	v_mul_f64 v[8:9], v[82:83], v[34:35]
	v_fma_f64 v[10:11], v[10:11], -0.5, v[4:5]
	v_add_f64 v[12:13], v[78:79], -v[14:15]
	v_fma_f64 v[86:87], v[80:81], v[32:33], v[8:9]
	v_mul_f64 v[8:9], v[82:83], v[32:33]
	v_add_f64 v[32:33], v[76:77], -v[84:85]
	v_fma_f64 v[80:81], v[80:81], v[34:35], -v[8:9]
	v_mul_f64 v[8:9], v[110:111], v[38:39]
	v_fma_f64 v[82:83], v[108:109], v[36:37], v[8:9]
	v_mul_f64 v[8:9], v[110:111], v[36:37]
	v_add_f64 v[34:35], v[86:87], v[82:83]
	v_fma_f64 v[38:39], v[108:109], v[38:39], -v[8:9]
	v_mul_f64 v[8:9], v[122:123], v[46:47]
	v_fma_f64 v[34:35], v[34:35], -0.5, v[28:29]
	v_add_f64 v[36:37], v[80:81], -v[38:39]
	v_fma_f64 v[88:89], v[120:121], v[44:45], v[8:9]
	v_mul_f64 v[8:9], v[122:123], v[44:45]
	v_add_f64 v[44:45], v[86:87], -v[82:83]
	;; [unrolled: 12-line block ×4, first 2 shown]
	v_fma_f64 v[102:103], v[136:137], v[70:71], -v[8:9]
	v_mul_f64 v[8:9], v[134:135], v[74:75]
	v_fma_f64 v[104:105], v[132:133], v[72:73], v[8:9]
	v_mul_f64 v[8:9], v[134:135], v[72:73]
	v_add_f64 v[70:71], v[100:101], v[104:105]
	v_fma_f64 v[74:75], v[132:133], v[74:75], -v[8:9]
	v_add_f64 v[8:9], v[4:5], v[76:77]
	v_fma_f64 v[4:5], v[12:13], s[2:3], v[10:11]
	v_fma_f64 v[12:13], v[12:13], s[8:9], v[10:11]
	v_add_f64 v[10:11], v[6:7], v[78:79]
	v_add_f64 v[76:77], v[100:101], -v[104:105]
	v_fma_f64 v[70:71], v[70:71], -0.5, v[64:65]
	v_add_f64 v[72:73], v[102:103], -v[74:75]
	v_add_f64 v[8:9], v[8:9], v[84:85]
	v_add_f64 v[10:11], v[10:11], v[14:15]
	v_add_f64 v[14:15], v[78:79], v[14:15]
	v_fma_f64 v[14:15], v[14:15], -0.5, v[6:7]
	v_fma_f64 v[6:7], v[32:33], s[8:9], v[14:15]
	v_fma_f64 v[14:15], v[32:33], s[2:3], v[14:15]
	v_add_f64 v[32:33], v[28:29], v[86:87]
	v_fma_f64 v[28:29], v[36:37], s[2:3], v[34:35]
	v_fma_f64 v[36:37], v[36:37], s[8:9], v[34:35]
	v_add_f64 v[34:35], v[30:31], v[80:81]
	v_add_f64 v[32:33], v[32:33], v[82:83]
	v_add_f64 v[34:35], v[34:35], v[38:39]
	v_add_f64 v[38:39], v[80:81], v[38:39]
	v_fma_f64 v[38:39], v[38:39], -0.5, v[30:31]
	v_fma_f64 v[30:31], v[44:45], s[8:9], v[38:39]
	v_fma_f64 v[38:39], v[44:45], s[2:3], v[38:39]
	v_add_f64 v[44:45], v[40:41], v[88:89]
	v_fma_f64 v[40:41], v[48:49], s[2:3], v[46:47]
	v_fma_f64 v[48:49], v[48:49], s[8:9], v[46:47]
	v_add_f64 v[46:47], v[42:43], v[90:91]
	;; [unrolled: 10-line block ×4, first 2 shown]
	v_add_f64 v[68:69], v[68:69], v[104:105]
	v_add_f64 v[70:71], v[70:71], v[74:75]
	v_add_f64 v[74:75], v[102:103], v[74:75]
	v_fma_f64 v[74:75], v[74:75], -0.5, v[66:67]
	v_fma_f64 v[66:67], v[76:77], s[8:9], v[74:75]
	v_fma_f64 v[74:75], v[76:77], s[2:3], v[74:75]
	buffer_load_dword v76, off, s[36:39], 0 offset:404 ; 4-byte Folded Reload
	s_waitcnt vmcnt(0)
	ds_write_b128 v76, v[8:11]
	ds_write_b128 v76, v[4:7] offset:144
	ds_write_b128 v76, v[12:15] offset:288
	buffer_load_dword v4, off, s[36:39], 0 offset:408 ; 4-byte Folded Reload
	s_waitcnt vmcnt(0)
	ds_write_b128 v4, v[32:35]
	ds_write_b128 v4, v[28:31] offset:144
	ds_write_b128 v4, v[36:39] offset:288
	;; [unrolled: 5-line block ×5, first 2 shown]
	s_waitcnt lgkmcnt(0)
	; wave barrier
	s_waitcnt lgkmcnt(0)
	ds_read_b128 v[80:83], v112
	ds_read_b128 v[4:7], v112 offset:3024
	ds_read_b128 v[8:11], v112 offset:6048
	;; [unrolled: 1-line block ×14, first 2 shown]
	s_waitcnt lgkmcnt(13)
	v_mul_f64 v[44:45], v[158:159], v[6:7]
	s_mov_b32 s8, 0x4755a5e
	s_mov_b32 s9, 0xbfe2cf23
	s_mov_b32 s16, s8
	s_mov_b32 s2, 0x372fe950
	s_mov_b32 s3, 0x3fd3c6ef
	s_waitcnt lgkmcnt(0)
	; wave barrier
	s_waitcnt lgkmcnt(0)
	v_fma_f64 v[58:59], v[156:157], v[4:5], v[44:45]
	v_mul_f64 v[4:5], v[158:159], v[4:5]
	v_fma_f64 v[4:5], v[156:157], v[6:7], -v[4:5]
	v_mul_f64 v[6:7], v[154:155], v[10:11]
	v_fma_f64 v[6:7], v[152:153], v[8:9], v[6:7]
	v_mul_f64 v[8:9], v[154:155], v[8:9]
	v_fma_f64 v[8:9], v[152:153], v[10:11], -v[8:9]
	v_mul_f64 v[10:11], v[150:151], v[14:15]
	;; [unrolled: 4-line block ×8, first 2 shown]
	v_mul_f64 v[2:3], v[2:3], v[68:69]
	v_add_f64 v[66:67], v[4:5], -v[28:29]
	v_fma_f64 v[40:41], v[0:1], v[68:69], v[32:33]
	v_fma_f64 v[32:33], v[0:1], v[70:71], -v[2:3]
	v_mul_f64 v[0:1], v[250:251], v[74:75]
	v_add_f64 v[70:71], v[8:9], -v[12:13]
	v_fma_f64 v[2:3], v[248:249], v[72:73], v[0:1]
	v_mul_f64 v[0:1], v[250:251], v[72:73]
	v_add_f64 v[72:73], v[58:59], -v[6:7]
	v_fma_f64 v[34:35], v[248:249], v[74:75], -v[0:1]
	v_mul_f64 v[0:1], v[246:247], v[86:87]
	v_add_f64 v[74:75], v[14:15], -v[10:11]
	v_fma_f64 v[42:43], v[244:245], v[84:85], v[0:1]
	v_mul_f64 v[0:1], v[246:247], v[84:85]
	v_add_f64 v[74:75], v[72:73], v[74:75]
	v_add_f64 v[84:85], v[10:11], -v[14:15]
	v_fma_f64 v[36:37], v[244:245], v[86:87], -v[0:1]
	v_mul_f64 v[0:1], v[242:243], v[90:91]
	v_fma_f64 v[44:45], v[240:241], v[88:89], v[0:1]
	v_mul_f64 v[0:1], v[242:243], v[88:89]
	v_fma_f64 v[38:39], v[240:241], v[90:91], -v[0:1]
	v_add_f64 v[0:1], v[80:81], v[58:59]
	v_add_f64 v[0:1], v[0:1], v[6:7]
	;; [unrolled: 1-line block ×5, first 2 shown]
	v_fma_f64 v[0:1], v[0:1], -0.5, v[80:81]
	v_fma_f64 v[68:69], v[66:67], s[10:11], v[0:1]
	v_fma_f64 v[0:1], v[66:67], s[14:15], v[0:1]
	;; [unrolled: 1-line block ×6, first 2 shown]
	v_add_f64 v[0:1], v[58:59], v[14:15]
	v_add_f64 v[14:15], v[58:59], -v[14:15]
	v_fma_f64 v[0:1], v[0:1], -0.5, v[80:81]
	v_add_f64 v[80:81], v[6:7], -v[58:59]
	v_add_f64 v[6:7], v[6:7], -v[10:11]
	v_fma_f64 v[74:75], v[70:71], s[14:15], v[0:1]
	v_fma_f64 v[0:1], v[70:71], s[10:11], v[0:1]
	v_add_f64 v[80:81], v[80:81], v[84:85]
	v_add_f64 v[70:71], v[28:29], -v[12:13]
	v_fma_f64 v[74:75], v[66:67], s[8:9], v[74:75]
	v_fma_f64 v[0:1], v[66:67], s[16:17], v[0:1]
	;; [unrolled: 1-line block ×4, first 2 shown]
	v_add_f64 v[0:1], v[82:83], v[4:5]
	v_add_f64 v[0:1], v[0:1], v[8:9]
	;; [unrolled: 1-line block ×5, first 2 shown]
	v_fma_f64 v[0:1], v[0:1], -0.5, v[82:83]
	v_fma_f64 v[58:59], v[14:15], s[14:15], v[0:1]
	v_fma_f64 v[0:1], v[14:15], s[10:11], v[0:1]
	;; [unrolled: 1-line block ×3, first 2 shown]
	v_add_f64 v[58:59], v[4:5], -v[8:9]
	v_fma_f64 v[0:1], v[6:7], s[8:9], v[0:1]
	v_add_f64 v[58:59], v[58:59], v[70:71]
	v_fma_f64 v[70:71], v[58:59], s[2:3], v[0:1]
	v_add_f64 v[0:1], v[4:5], v[28:29]
	v_fma_f64 v[74:75], v[58:59], s[2:3], v[10:11]
	v_add_f64 v[4:5], v[8:9], -v[4:5]
	v_add_f64 v[8:9], v[12:13], -v[28:29]
	v_add_f64 v[12:13], v[94:95], -v[56:57]
	v_fma_f64 v[0:1], v[0:1], -0.5, v[82:83]
	v_add_f64 v[4:5], v[4:5], v[8:9]
	v_add_f64 v[8:9], v[48:49], -v[50:51]
	v_fma_f64 v[10:11], v[6:7], s[10:11], v[0:1]
	v_fma_f64 v[0:1], v[6:7], s[14:15], v[0:1]
	v_add_f64 v[6:7], v[46:47], -v[52:53]
	v_fma_f64 v[10:11], v[14:15], s[16:17], v[10:11]
	v_fma_f64 v[0:1], v[14:15], s[8:9], v[0:1]
	v_add_f64 v[14:15], v[46:47], -v[48:49]
	v_fma_f64 v[86:87], v[4:5], s[2:3], v[10:11]
	v_fma_f64 v[82:83], v[4:5], s[2:3], v[0:1]
	v_add_f64 v[0:1], v[76:77], v[30:31]
	v_add_f64 v[10:11], v[30:31], -v[54:55]
	v_add_f64 v[0:1], v[0:1], v[54:55]
	v_add_f64 v[10:11], v[10:11], v[12:13]
	v_add_f64 v[12:13], v[56:57], -v[94:95]
	v_add_f64 v[0:1], v[0:1], v[56:57]
	v_add_f64 v[88:89], v[0:1], v[94:95]
	;; [unrolled: 1-line block ×3, first 2 shown]
	v_fma_f64 v[0:1], v[0:1], -0.5, v[76:77]
	v_fma_f64 v[4:5], v[6:7], s[10:11], v[0:1]
	v_fma_f64 v[0:1], v[6:7], s[14:15], v[0:1]
	;; [unrolled: 1-line block ×6, first 2 shown]
	v_add_f64 v[0:1], v[30:31], v[94:95]
	v_add_f64 v[10:11], v[54:55], -v[30:31]
	v_fma_f64 v[0:1], v[0:1], -0.5, v[76:77]
	v_add_f64 v[10:11], v[10:11], v[12:13]
	v_add_f64 v[12:13], v[54:55], -v[56:57]
	v_add_f64 v[54:55], v[2:3], -v[40:41]
	v_add_f64 v[56:57], v[42:43], -v[44:45]
	v_fma_f64 v[4:5], v[8:9], s[14:15], v[0:1]
	v_fma_f64 v[0:1], v[8:9], s[10:11], v[0:1]
	v_add_f64 v[54:55], v[54:55], v[56:57]
	v_fma_f64 v[4:5], v[6:7], s[8:9], v[4:5]
	v_fma_f64 v[0:1], v[6:7], s[16:17], v[0:1]
	;; [unrolled: 1-line block ×4, first 2 shown]
	v_add_f64 v[0:1], v[78:79], v[46:47]
	v_add_f64 v[10:11], v[30:31], -v[94:95]
	v_add_f64 v[30:31], v[52:53], -v[50:51]
	v_add_f64 v[0:1], v[0:1], v[48:49]
	v_add_f64 v[14:15], v[14:15], v[30:31]
	;; [unrolled: 1-line block ×5, first 2 shown]
	v_fma_f64 v[0:1], v[0:1], -0.5, v[78:79]
	v_fma_f64 v[6:7], v[10:11], s[14:15], v[0:1]
	v_fma_f64 v[0:1], v[10:11], s[10:11], v[0:1]
	;; [unrolled: 1-line block ×6, first 2 shown]
	v_add_f64 v[0:1], v[46:47], v[52:53]
	v_add_f64 v[14:15], v[48:49], -v[46:47]
	v_add_f64 v[46:47], v[50:51], -v[52:53]
	;; [unrolled: 1-line block ×5, first 2 shown]
	v_fma_f64 v[0:1], v[0:1], -0.5, v[78:79]
	v_add_f64 v[14:15], v[14:15], v[46:47]
	v_add_f64 v[50:51], v[50:51], v[52:53]
	v_fma_f64 v[6:7], v[12:13], s[10:11], v[0:1]
	v_fma_f64 v[0:1], v[12:13], s[14:15], v[0:1]
	;; [unrolled: 1-line block ×6, first 2 shown]
	v_add_f64 v[0:1], v[60:61], v[40:41]
	v_add_f64 v[14:15], v[32:33], -v[38:39]
	v_add_f64 v[0:1], v[0:1], v[2:3]
	v_add_f64 v[0:1], v[0:1], v[42:43]
	;; [unrolled: 1-line block ×4, first 2 shown]
	v_add_f64 v[42:43], v[2:3], -v[42:43]
	v_fma_f64 v[0:1], v[0:1], -0.5, v[60:61]
	v_fma_f64 v[46:47], v[14:15], s[10:11], v[0:1]
	v_fma_f64 v[0:1], v[14:15], s[14:15], v[0:1]
	;; [unrolled: 1-line block ×6, first 2 shown]
	v_add_f64 v[50:51], v[40:41], v[44:45]
	v_add_f64 v[40:41], v[40:41], -v[44:45]
	v_fma_f64 v[52:53], v[50:51], -0.5, v[60:61]
	v_fma_f64 v[50:51], v[48:49], s[14:15], v[52:53]
	v_fma_f64 v[48:49], v[48:49], s[10:11], v[52:53]
	;; [unrolled: 1-line block ×4, first 2 shown]
	v_add_f64 v[48:49], v[34:35], v[36:37]
	v_fma_f64 v[50:51], v[54:55], s[2:3], v[50:51]
	v_fma_f64 v[54:55], v[54:55], s[2:3], v[14:15]
	v_fma_f64 v[52:53], v[48:49], -0.5, v[62:63]
	v_add_f64 v[48:49], v[38:39], -v[36:37]
	v_add_f64 v[14:15], v[62:63], v[32:33]
	v_fma_f64 v[44:45], v[40:41], s[14:15], v[52:53]
	v_add_f64 v[14:15], v[14:15], v[34:35]
	v_fma_f64 v[2:3], v[42:43], s[16:17], v[44:45]
	v_add_f64 v[44:45], v[32:33], -v[34:35]
	v_add_f64 v[14:15], v[14:15], v[36:37]
	v_add_f64 v[44:45], v[44:45], v[48:49]
	;; [unrolled: 1-line block ×3, first 2 shown]
	v_fma_f64 v[48:49], v[44:45], s[2:3], v[2:3]
	v_fma_f64 v[2:3], v[40:41], s[10:11], v[52:53]
	;; [unrolled: 1-line block ×4, first 2 shown]
	v_add_f64 v[44:45], v[32:33], v[38:39]
	v_add_f64 v[32:33], v[34:35], -v[32:33]
	v_add_f64 v[34:35], v[36:37], -v[38:39]
	v_fma_f64 v[44:45], v[44:45], -0.5, v[62:63]
	v_add_f64 v[32:33], v[32:33], v[34:35]
	v_fma_f64 v[52:53], v[42:43], s[10:11], v[44:45]
	v_fma_f64 v[34:35], v[42:43], s[14:15], v[44:45]
	;; [unrolled: 1-line block ×6, first 2 shown]
	buffer_load_dword v32, off, s[36:39], 0 offset:456 ; 4-byte Folded Reload
	s_waitcnt vmcnt(0)
	ds_write_b128 v32, v[64:67]
	ds_write_b128 v32, v[72:75] offset:432
	ds_write_b128 v32, v[84:87] offset:864
	;; [unrolled: 1-line block ×4, first 2 shown]
	buffer_load_dword v32, off, s[36:39], 0 offset:460 ; 4-byte Folded Reload
	s_waitcnt vmcnt(0)
	ds_write_b128 v32, v[88:91]
	ds_write_b128 v32, v[28:31] offset:432
	ds_write_b128 v32, v[4:7] offset:864
	;; [unrolled: 1-line block ×4, first 2 shown]
	ds_write_b128 v113, v[12:15]
	ds_write_b128 v113, v[46:49] offset:432
	ds_write_b128 v113, v[50:53] offset:864
	;; [unrolled: 1-line block ×4, first 2 shown]
	s_waitcnt lgkmcnt(0)
	; wave barrier
	s_waitcnt lgkmcnt(0)
	ds_read_b128 v[64:67], v112
	ds_read_b128 v[108:111], v112 offset:2160
	ds_read_b128 v[104:107], v112 offset:4320
	;; [unrolled: 1-line block ×13, first 2 shown]
	s_and_saveexec_b64 s[2:3], s[0:1]
	s_cbranch_execz .LBB0_7
; %bb.6:
	ds_read_b128 v[0:3], v112 offset:2016
	ds_read_b128 v[4:7], v112 offset:4176
	s_waitcnt lgkmcnt(0)
	buffer_store_dword v4, off, s[36:39], 0 offset:4 ; 4-byte Folded Spill
	s_nop 0
	buffer_store_dword v5, off, s[36:39], 0 offset:8 ; 4-byte Folded Spill
	buffer_store_dword v6, off, s[36:39], 0 offset:12 ; 4-byte Folded Spill
	;; [unrolled: 1-line block ×3, first 2 shown]
	ds_read_b128 v[168:171], v112 offset:6336
	ds_read_b128 v[160:163], v112 offset:8496
	ds_read_b128 v[16:19], v112 offset:10656
	ds_read_b128 v[20:23], v112 offset:12816
	ds_read_b128 v[24:27], v112 offset:14976
.LBB0_7:
	s_or_b64 exec, exec, s[2:3]
	s_waitcnt lgkmcnt(12)
	v_mul_f64 v[4:5], v[210:211], v[110:111]
	v_mul_f64 v[6:7], v[210:211], v[108:109]
	s_waitcnt lgkmcnt(11)
	v_mul_f64 v[8:9], v[202:203], v[106:107]
	v_mul_f64 v[10:11], v[202:203], v[104:105]
	;; [unrolled: 3-line block ×4, first 2 shown]
	v_mul_f64 v[12:13], v[198:199], v[102:103]
	v_mul_f64 v[14:15], v[198:199], v[100:101]
	v_fma_f64 v[4:5], v[208:209], v[108:109], v[4:5]
	v_fma_f64 v[6:7], v[208:209], v[110:111], -v[6:7]
	v_fma_f64 v[8:9], v[200:201], v[104:105], v[8:9]
	v_fma_f64 v[10:11], v[200:201], v[106:107], -v[10:11]
	v_mul_f64 v[32:33], v[186:187], v[94:95]
	v_mul_f64 v[34:35], v[186:187], v[92:93]
	v_fma_f64 v[36:37], v[228:229], v[88:89], v[36:37]
	v_fma_f64 v[38:39], v[228:229], v[90:91], -v[38:39]
	v_fma_f64 v[40:41], v[224:225], v[84:85], v[40:41]
	v_fma_f64 v[42:43], v[224:225], v[86:87], -v[42:43]
	s_waitcnt lgkmcnt(2)
	v_mul_f64 v[56:57], v[206:207], v[78:79]
	v_mul_f64 v[58:59], v[206:207], v[76:77]
	v_fma_f64 v[12:13], v[196:197], v[100:101], v[12:13]
	v_fma_f64 v[14:15], v[196:197], v[102:103], -v[14:15]
	v_fma_f64 v[32:33], v[184:185], v[92:93], v[32:33]
	v_fma_f64 v[34:35], v[184:185], v[94:95], -v[34:35]
	v_mul_f64 v[48:49], v[222:223], v[70:71]
	v_mul_f64 v[50:51], v[222:223], v[68:69]
	v_fma_f64 v[56:57], v[204:205], v[76:77], v[56:57]
	v_fma_f64 v[58:59], v[204:205], v[78:79], -v[58:59]
	v_add_f64 v[76:77], v[4:5], v[40:41]
	v_add_f64 v[78:79], v[6:7], v[42:43]
	v_add_f64 v[4:5], v[4:5], -v[40:41]
	v_add_f64 v[6:7], v[6:7], -v[42:43]
	v_add_f64 v[40:41], v[8:9], v[36:37]
	v_add_f64 v[42:43], v[10:11], v[38:39]
	s_waitcnt lgkmcnt(1)
	v_mul_f64 v[84:85], v[234:235], v[82:83]
	v_mul_f64 v[86:87], v[234:235], v[80:81]
	v_add_f64 v[8:9], v[8:9], -v[36:37]
	v_add_f64 v[10:11], v[10:11], -v[38:39]
	v_add_f64 v[36:37], v[12:13], v[32:33]
	v_add_f64 v[38:39], v[14:15], v[34:35]
	v_add_f64 v[12:13], v[32:33], -v[12:13]
	v_add_f64 v[14:15], v[34:35], -v[14:15]
	v_add_f64 v[32:33], v[40:41], v[76:77]
	v_add_f64 v[34:35], v[42:43], v[78:79]
	v_fma_f64 v[48:49], v[220:221], v[68:69], v[48:49]
	v_fma_f64 v[50:51], v[220:221], v[70:71], -v[50:51]
	v_fma_f64 v[68:69], v[232:233], v[80:81], v[84:85]
	v_fma_f64 v[70:71], v[232:233], v[82:83], -v[86:87]
	v_add_f64 v[80:81], v[40:41], -v[76:77]
	v_add_f64 v[82:83], v[42:43], -v[78:79]
	;; [unrolled: 1-line block ×6, first 2 shown]
	v_add_f64 v[84:85], v[12:13], v[8:9]
	v_add_f64 v[86:87], v[14:15], v[10:11]
	v_add_f64 v[88:89], v[12:13], -v[8:9]
	v_add_f64 v[90:91], v[14:15], -v[10:11]
	v_add_f64 v[32:33], v[36:37], v[32:33]
	v_add_f64 v[34:35], v[38:39], v[34:35]
	v_add_f64 v[8:9], v[8:9], -v[4:5]
	v_add_f64 v[10:11], v[10:11], -v[6:7]
	s_mov_b32 s14, 0x37e14327
	s_mov_b32 s8, 0x36b3c0b5
	;; [unrolled: 1-line block ×8, first 2 shown]
	v_mul_f64 v[52:53], v[218:219], v[74:75]
	v_mul_f64 v[54:55], v[218:219], v[72:73]
	v_add_f64 v[12:13], v[4:5], -v[12:13]
	v_add_f64 v[14:15], v[6:7], -v[14:15]
	v_add_f64 v[36:37], v[84:85], v[4:5]
	v_add_f64 v[38:39], v[86:87], v[6:7]
	;; [unrolled: 1-line block ×4, first 2 shown]
	v_mul_f64 v[64:65], v[76:77], s[14:15]
	v_mul_f64 v[66:67], v[78:79], s[14:15]
	;; [unrolled: 1-line block ×8, first 2 shown]
	s_mov_b32 s24, 0xaaaaaaaa
	s_mov_b32 s10, 0x5476071b
	;; [unrolled: 1-line block ×10, first 2 shown]
	v_mul_f64 v[44:45], v[238:239], v[98:99]
	v_mul_f64 v[46:47], v[238:239], v[96:97]
	v_fma_f64 v[52:53], v[216:217], v[72:73], v[52:53]
	v_fma_f64 v[54:55], v[216:217], v[74:75], -v[54:55]
	s_waitcnt lgkmcnt(0)
	v_mul_f64 v[72:73], v[142:143], v[30:31]
	v_mul_f64 v[74:75], v[142:143], v[28:29]
	v_fma_f64 v[32:33], v[32:33], s[24:25], v[4:5]
	v_fma_f64 v[34:35], v[34:35], s[24:25], v[6:7]
	;; [unrolled: 1-line block ×4, first 2 shown]
	v_fma_f64 v[76:77], v[80:81], s[10:11], -v[76:77]
	v_fma_f64 v[78:79], v[82:83], s[10:11], -v[78:79]
	;; [unrolled: 1-line block ×4, first 2 shown]
	v_fma_f64 v[80:81], v[12:13], s[26:27], v[84:85]
	v_fma_f64 v[82:83], v[14:15], s[26:27], v[86:87]
	v_fma_f64 v[8:9], v[8:9], s[2:3], -v[84:85]
	v_fma_f64 v[10:11], v[10:11], s[2:3], -v[86:87]
	;; [unrolled: 1-line block ×4, first 2 shown]
	s_mov_b32 s20, 0x37c3f68c
	s_mov_b32 s21, 0xbfdc38aa
	v_fma_f64 v[44:45], v[236:237], v[96:97], v[44:45]
	v_fma_f64 v[46:47], v[236:237], v[98:99], -v[46:47]
	v_add_f64 v[84:85], v[40:41], v[32:33]
	v_add_f64 v[86:87], v[42:43], v[34:35]
	;; [unrolled: 1-line block ×6, first 2 shown]
	v_fma_f64 v[76:77], v[38:39], s[20:21], v[82:83]
	v_fma_f64 v[78:79], v[36:37], s[20:21], v[80:81]
	;; [unrolled: 1-line block ×7, first 2 shown]
	v_fma_f64 v[74:75], v[140:141], v[30:31], -v[74:75]
	v_add_f64 v[8:9], v[76:77], v[84:85]
	v_add_f64 v[10:11], v[86:87], -v[78:79]
	v_add_f64 v[12:13], v[80:81], v[64:65]
	v_add_f64 v[14:15], v[66:67], -v[82:83]
	v_add_f64 v[28:29], v[40:41], -v[32:33]
	v_add_f64 v[30:31], v[34:35], v[42:43]
	v_add_f64 v[32:33], v[32:33], v[40:41]
	v_add_f64 v[34:35], v[42:43], -v[34:35]
	v_add_f64 v[36:37], v[64:65], -v[80:81]
	v_add_f64 v[38:39], v[82:83], v[66:67]
	v_add_f64 v[40:41], v[44:45], v[72:73]
	v_add_f64 v[42:43], v[46:47], v[74:75]
	v_add_f64 v[64:65], v[48:49], v[68:69]
	v_add_f64 v[66:67], v[50:51], v[70:71]
	v_add_f64 v[44:45], v[44:45], -v[72:73]
	v_add_f64 v[46:47], v[46:47], -v[74:75]
	;; [unrolled: 1-line block ×4, first 2 shown]
	v_add_f64 v[68:69], v[52:53], v[56:57]
	v_add_f64 v[70:71], v[54:55], v[58:59]
	v_add_f64 v[52:53], v[56:57], -v[52:53]
	v_add_f64 v[54:55], v[58:59], -v[54:55]
	v_add_f64 v[56:57], v[64:65], v[40:41]
	v_add_f64 v[58:59], v[66:67], v[42:43]
	v_add_f64 v[72:73], v[64:65], -v[40:41]
	v_add_f64 v[74:75], v[66:67], -v[42:43]
	;; [unrolled: 1-line block ×6, first 2 shown]
	v_add_f64 v[40:41], v[52:53], v[48:49]
	v_add_f64 v[42:43], v[54:55], v[50:51]
	v_add_f64 v[88:89], v[52:53], -v[48:49]
	v_add_f64 v[90:91], v[54:55], -v[50:51]
	v_add_f64 v[56:57], v[68:69], v[56:57]
	v_add_f64 v[58:59], v[70:71], v[58:59]
	v_add_f64 v[48:49], v[48:49], -v[44:45]
	v_add_f64 v[50:51], v[50:51], -v[46:47]
	;; [unrolled: 1-line block ×4, first 2 shown]
	v_add_f64 v[44:45], v[40:41], v[44:45]
	v_add_f64 v[46:47], v[42:43], v[46:47]
	;; [unrolled: 1-line block ×4, first 2 shown]
	v_mul_f64 v[60:61], v[80:81], s[14:15]
	v_mul_f64 v[62:63], v[82:83], s[14:15]
	v_mul_f64 v[68:69], v[64:65], s[8:9]
	v_mul_f64 v[70:71], v[66:67], s[8:9]
	v_mul_f64 v[80:81], v[88:89], s[16:17]
	v_mul_f64 v[82:83], v[90:91], s[16:17]
	v_mul_f64 v[88:89], v[48:49], s[2:3]
	v_mul_f64 v[90:91], v[50:51], s[2:3]
	v_fma_f64 v[56:57], v[56:57], s[24:25], v[40:41]
	v_fma_f64 v[58:59], v[58:59], s[24:25], v[42:43]
	;; [unrolled: 1-line block ×4, first 2 shown]
	v_fma_f64 v[68:69], v[72:73], s[10:11], -v[68:69]
	v_fma_f64 v[70:71], v[74:75], s[10:11], -v[70:71]
	v_fma_f64 v[60:61], v[72:73], s[18:19], -v[60:61]
	v_fma_f64 v[62:63], v[74:75], s[18:19], -v[62:63]
	v_fma_f64 v[72:73], v[52:53], s[26:27], v[80:81]
	v_fma_f64 v[74:75], v[54:55], s[26:27], v[82:83]
	v_fma_f64 v[48:49], v[48:49], s[2:3], -v[80:81]
	v_fma_f64 v[50:51], v[50:51], s[2:3], -v[82:83]
	;; [unrolled: 1-line block ×4, first 2 shown]
	v_add_f64 v[80:81], v[64:65], v[56:57]
	v_add_f64 v[82:83], v[66:67], v[58:59]
	v_add_f64 v[64:65], v[68:69], v[56:57]
	v_add_f64 v[66:67], v[70:71], v[58:59]
	v_add_f64 v[68:69], v[60:61], v[56:57]
	v_add_f64 v[70:71], v[62:63], v[58:59]
	v_fma_f64 v[74:75], v[46:47], s[20:21], v[74:75]
	v_fma_f64 v[72:73], v[44:45], s[20:21], v[72:73]
	;; [unrolled: 1-line block ×6, first 2 shown]
	v_add_f64 v[44:45], v[84:85], -v[76:77]
	v_add_f64 v[46:47], v[78:79], v[86:87]
	v_add_f64 v[48:49], v[74:75], v[80:81]
	v_add_f64 v[50:51], v[82:83], -v[72:73]
	v_add_f64 v[52:53], v[88:89], v[68:69]
	v_add_f64 v[54:55], v[70:71], -v[90:91]
	v_add_f64 v[56:57], v[64:65], -v[60:61]
	v_add_f64 v[58:59], v[62:63], v[66:67]
	v_add_f64 v[60:61], v[60:61], v[64:65]
	v_add_f64 v[62:63], v[66:67], -v[62:63]
	v_add_f64 v[64:65], v[68:69], -v[88:89]
	v_add_f64 v[66:67], v[90:91], v[70:71]
	v_add_f64 v[68:69], v[80:81], -v[74:75]
	v_add_f64 v[70:71], v[72:73], v[82:83]
	ds_write_b128 v112, v[4:7]
	ds_write_b128 v112, v[8:11] offset:2160
	ds_write_b128 v112, v[12:15] offset:4320
	;; [unrolled: 1-line block ×13, first 2 shown]
	s_and_saveexec_b64 s[28:29], s[0:1]
	s_cbranch_execz .LBB0_9
; %bb.8:
	buffer_load_dword v36, off, s[36:39], 0 offset:464 ; 4-byte Folded Reload
	buffer_load_dword v37, off, s[36:39], 0 offset:468 ; 4-byte Folded Reload
	;; [unrolled: 1-line block ×20, first 2 shown]
	s_waitcnt vmcnt(16)
	v_mul_f64 v[4:5], v[38:39], v[18:19]
	s_waitcnt vmcnt(12)
	v_mul_f64 v[6:7], v[42:43], v[162:163]
	;; [unrolled: 2-line block ×4, first 2 shown]
	v_mul_f64 v[12:13], v[54:55], v[24:25]
	buffer_load_dword v54, off, s[36:39], 0 offset:544 ; 4-byte Folded Reload
	buffer_load_dword v55, off, s[36:39], 0 offset:548 ; 4-byte Folded Reload
	;; [unrolled: 1-line block ×8, first 2 shown]
	v_mul_f64 v[8:9], v[50:51], v[60:61]
	v_fma_f64 v[4:5], v[36:37], v[16:17], v[4:5]
	v_mul_f64 v[16:17], v[38:39], v[16:17]
	v_fma_f64 v[14:15], v[48:49], v[60:61], -v[14:15]
	v_fma_f64 v[6:7], v[40:41], v[160:161], v[6:7]
	v_fma_f64 v[12:13], v[52:53], v[26:27], -v[12:13]
	v_mul_f64 v[26:27], v[42:43], v[160:161]
	v_fma_f64 v[10:11], v[52:53], v[24:25], v[10:11]
	v_fma_f64 v[8:9], v[48:49], v[58:59], v[8:9]
	v_fma_f64 v[16:17], v[36:37], v[18:19], -v[16:17]
	v_add_f64 v[18:19], v[14:15], v[12:13]
	v_fma_f64 v[24:25], v[40:41], v[162:163], -v[26:27]
	v_add_f64 v[12:13], v[14:15], -v[12:13]
	v_add_f64 v[40:41], v[8:9], -v[10:11]
	v_add_f64 v[8:9], v[8:9], v[10:11]
	v_add_f64 v[36:37], v[24:25], v[16:17]
	v_add_f64 v[16:17], v[16:17], -v[24:25]
	s_waitcnt vmcnt(4)
	v_mul_f64 v[28:29], v[56:57], v[20:21]
	s_waitcnt vmcnt(0)
	v_mul_f64 v[30:31], v[46:47], v[168:169]
	v_mul_f64 v[32:33], v[46:47], v[170:171]
	;; [unrolled: 1-line block ×3, first 2 shown]
	v_fma_f64 v[22:23], v[54:55], v[22:23], -v[28:29]
	v_fma_f64 v[28:29], v[44:45], v[170:171], -v[30:31]
	v_fma_f64 v[30:31], v[44:45], v[168:169], v[32:33]
	v_fma_f64 v[20:21], v[54:55], v[20:21], v[34:35]
	v_add_f64 v[32:33], v[4:5], -v[6:7]
	v_add_f64 v[4:5], v[6:7], v[4:5]
	v_add_f64 v[26:27], v[28:29], v[22:23]
	v_add_f64 v[22:23], v[28:29], -v[22:23]
	v_add_f64 v[34:35], v[30:31], -v[20:21]
	v_add_f64 v[10:11], v[30:31], v[20:21]
	v_add_f64 v[20:21], v[18:19], -v[36:37]
	v_add_f64 v[14:15], v[8:9], -v[4:5]
	;; [unrolled: 3-line block ×3, first 2 shown]
	v_add_f64 v[44:45], v[10:11], v[8:9]
	v_mul_f64 v[20:21], v[20:21], s[14:15]
	v_add_f64 v[24:25], v[34:35], -v[40:41]
	v_add_f64 v[48:49], v[22:23], -v[12:13]
	;; [unrolled: 1-line block ×3, first 2 shown]
	v_add_f64 v[30:31], v[36:37], v[38:39]
	v_add_f64 v[38:39], v[40:41], -v[32:33]
	v_mul_f64 v[42:43], v[42:43], s[16:17]
	v_add_f64 v[32:33], v[32:33], v[34:35]
	v_add_f64 v[36:37], v[4:5], v[44:45]
	v_fma_f64 v[46:47], v[6:7], s[8:9], v[20:21]
	v_add_f64 v[4:5], v[4:5], -v[10:11]
	v_mul_f64 v[26:27], v[6:7], s[8:9]
	v_add_f64 v[2:3], v[2:3], v[30:31]
	v_mul_f64 v[14:15], v[14:15], s[14:15]
	v_fma_f64 v[44:45], v[38:39], s[26:27], v[42:43]
	v_add_f64 v[32:33], v[32:33], v[40:41]
	v_add_f64 v[40:41], v[16:17], -v[22:23]
	v_add_f64 v[0:1], v[0:1], v[36:37]
	v_add_f64 v[8:9], v[10:11], -v[8:9]
	v_mul_f64 v[10:11], v[48:49], s[2:3]
	v_fma_f64 v[30:31], v[30:31], s[24:25], v[2:3]
	v_fma_f64 v[20:21], v[18:19], s[18:19], -v[20:21]
	v_fma_f64 v[28:29], v[32:33], s[20:21], v[44:45]
	v_mul_f64 v[44:45], v[24:25], s[2:3]
	v_mul_f64 v[40:41], v[40:41], s[16:17]
	v_fma_f64 v[36:37], v[36:37], s[24:25], v[0:1]
	v_add_f64 v[34:35], v[46:47], v[30:31]
	v_add_f64 v[46:47], v[12:13], -v[16:17]
	v_add_f64 v[16:17], v[16:17], v[22:23]
	v_mul_f64 v[22:23], v[4:5], s[8:9]
	v_fma_f64 v[4:5], v[4:5], s[8:9], v[14:15]
	v_fma_f64 v[38:39], v[38:39], s[22:23], -v[44:45]
	v_fma_f64 v[14:15], v[8:9], s[18:19], -v[14:15]
	v_add_f64 v[20:21], v[20:21], v[30:31]
	v_add_f64 v[6:7], v[28:29], v[34:35]
	v_fma_f64 v[44:45], v[46:47], s[26:27], v[40:41]
	v_add_f64 v[12:13], v[16:17], v[12:13]
	v_fma_f64 v[16:17], v[18:19], s[10:11], -v[26:27]
	v_fma_f64 v[18:19], v[24:25], s[2:3], -v[42:43]
	v_fma_f64 v[10:11], v[46:47], s[22:23], -v[10:11]
	v_fma_f64 v[8:9], v[8:9], s[10:11], -v[22:23]
	v_fma_f64 v[22:23], v[48:49], s[2:3], -v[40:41]
	v_fma_f64 v[24:25], v[32:33], s[20:21], v[38:39]
	v_add_f64 v[4:5], v[4:5], v[36:37]
	v_add_f64 v[26:27], v[34:35], -v[28:29]
	v_add_f64 v[16:17], v[16:17], v[30:31]
	v_fma_f64 v[30:31], v[12:13], s[20:21], v[44:45]
	v_fma_f64 v[18:19], v[32:33], s[20:21], v[18:19]
	v_add_f64 v[32:33], v[14:15], v[36:37]
	v_fma_f64 v[38:39], v[12:13], s[20:21], v[10:11]
	v_add_f64 v[8:9], v[8:9], v[36:37]
	;; [unrolled: 2-line block ×3, first 2 shown]
	v_add_f64 v[22:23], v[20:21], -v[24:25]
	v_add_f64 v[24:25], v[30:31], v[4:5]
	v_add_f64 v[14:15], v[16:17], -v[18:19]
	v_add_f64 v[18:19], v[18:19], v[16:17]
	v_add_f64 v[20:21], v[38:39], v[32:33]
	v_add_f64 v[4:5], v[4:5], -v[30:31]
	v_add_f64 v[16:17], v[8:9], -v[12:13]
	v_add_f64 v[12:13], v[12:13], v[8:9]
	v_add_f64 v[8:9], v[32:33], -v[38:39]
	ds_write_b128 v112, v[0:3] offset:2016
	ds_write_b128 v112, v[24:27] offset:4176
	;; [unrolled: 1-line block ×7, first 2 shown]
.LBB0_9:
	s_or_b64 exec, exec, s[28:29]
	s_waitcnt lgkmcnt(0)
	; wave barrier
	s_waitcnt lgkmcnt(0)
	ds_read_b128 v[0:3], v112
	ds_read_b128 v[4:7], v112 offset:1008
	buffer_load_dword v18, off, s[36:39], 0 offset:124 ; 4-byte Folded Reload
	buffer_load_dword v19, off, s[36:39], 0 offset:128 ; 4-byte Folded Reload
	;; [unrolled: 1-line block ×6, first 2 shown]
	buffer_load_dword v14, off, s[36:39], 0 ; 4-byte Folded Reload
	v_mov_b32_e32 v24, s13
	s_waitcnt vmcnt(3) lgkmcnt(1)
	v_mul_f64 v[8:9], v[20:21], v[2:3]
	s_waitcnt vmcnt(2)
	v_mov_b32_e32 v15, v10
	s_waitcnt vmcnt(1)
	v_mul_f64 v[10:11], v[20:21], v[0:1]
	v_mad_u64_u32 v[12:13], s[0:1], s6, v15, 0
	s_waitcnt vmcnt(0)
	v_mad_u64_u32 v[16:17], s[0:1], s4, v14, 0
	s_mul_hi_u32 s6, s4, 0xffffdc90
	v_fma_f64 v[0:1], v[18:19], v[0:1], v[8:9]
	v_mad_u64_u32 v[8:9], s[0:1], s7, v15, v[13:14]
	v_mov_b32_e32 v9, v17
	v_mad_u64_u32 v[14:15], s[2:3], s5, v14, v[9:10]
	v_mov_b32_e32 v13, v8
	v_fma_f64 v[2:3], v[18:19], v[2:3], -v[10:11]
	ds_read_b128 v[8:11], v112 offset:5040
	v_mov_b32_e32 v17, v14
	v_lshlrev_b64 v[18:19], 4, v[12:13]
	ds_read_b128 v[12:15], v112 offset:4032
	buffer_load_dword v26, off, s[36:39], 0 offset:20 ; 4-byte Folded Reload
	buffer_load_dword v27, off, s[36:39], 0 offset:24 ; 4-byte Folded Reload
	buffer_load_dword v28, off, s[36:39], 0 offset:28 ; 4-byte Folded Reload
	buffer_load_dword v29, off, s[36:39], 0 offset:32 ; 4-byte Folded Reload
	s_mov_b32 s0, 0xbc011567
	s_mov_b32 s1, 0x3f51566a
	v_mul_f64 v[0:1], v[0:1], s[0:1]
	v_mul_f64 v[2:3], v[2:3], s[0:1]
	v_add_co_u32_e32 v25, vcc, s12, v18
	v_addc_co_u32_e32 v24, vcc, v24, v19, vcc
	v_lshlrev_b64 v[16:17], 4, v[16:17]
	s_mul_i32 s2, s5, 0x13b0
	s_mul_hi_u32 s3, s4, 0x13b0
	s_add_i32 s2, s3, s2
	s_mul_i32 s3, s4, 0x13b0
	s_mulk_i32 s5, 0xdc90
	s_sub_i32 s6, s6, s4
	s_add_i32 s5, s6, s5
	s_mulk_i32 s4, 0xdc90
	s_waitcnt vmcnt(0) lgkmcnt(1)
	v_mul_f64 v[20:21], v[28:29], v[10:11]
	v_mul_f64 v[22:23], v[28:29], v[8:9]
	v_mov_b32_e32 v28, s2
	v_fma_f64 v[18:19], v[26:27], v[8:9], v[20:21]
	v_fma_f64 v[20:21], v[26:27], v[10:11], -v[22:23]
	v_add_co_u32_e32 v22, vcc, v25, v16
	v_addc_co_u32_e32 v23, vcc, v24, v17, vcc
	global_store_dwordx4 v[22:23], v[0:3], off
	ds_read_b128 v[8:11], v112 offset:10080
	v_mul_f64 v[0:1], v[18:19], s[0:1]
	ds_read_b128 v[16:19], v112 offset:11088
	buffer_load_dword v29, off, s[36:39], 0 offset:36 ; 4-byte Folded Reload
	buffer_load_dword v30, off, s[36:39], 0 offset:40 ; 4-byte Folded Reload
	;; [unrolled: 1-line block ×4, first 2 shown]
	v_mul_f64 v[2:3], v[20:21], s[0:1]
	v_add_co_u32_e32 v22, vcc, s3, v22
	v_addc_co_u32_e32 v23, vcc, v23, v28, vcc
	s_waitcnt vmcnt(0) lgkmcnt(1)
	v_mul_f64 v[24:25], v[31:32], v[10:11]
	v_mul_f64 v[26:27], v[31:32], v[8:9]
	v_fma_f64 v[8:9], v[29:30], v[8:9], v[24:25]
	v_fma_f64 v[10:11], v[29:30], v[10:11], -v[26:27]
	buffer_load_dword v29, off, s[36:39], 0 offset:60 ; 4-byte Folded Reload
	buffer_load_dword v30, off, s[36:39], 0 offset:64 ; 4-byte Folded Reload
	;; [unrolled: 1-line block ×4, first 2 shown]
	v_mov_b32_e32 v26, s2
	global_store_dwordx4 v[22:23], v[0:3], off
	s_waitcnt vmcnt(1)
	v_mul_f64 v[20:21], v[31:32], v[6:7]
	v_mul_f64 v[24:25], v[31:32], v[4:5]
	;; [unrolled: 1-line block ×4, first 2 shown]
	v_fma_f64 v[8:9], v[29:30], v[4:5], v[20:21]
	v_fma_f64 v[10:11], v[29:30], v[6:7], -v[24:25]
	v_add_co_u32_e32 v20, vcc, s3, v22
	v_addc_co_u32_e32 v21, vcc, v23, v26, vcc
	global_store_dwordx4 v[20:21], v[0:3], off
	ds_read_b128 v[4:7], v112 offset:6048
	v_mul_f64 v[0:1], v[8:9], s[0:1]
	v_mul_f64 v[2:3], v[10:11], s[0:1]
	ds_read_b128 v[8:11], v112 offset:7056
	buffer_load_dword v27, off, s[36:39], 0 offset:76 ; 4-byte Folded Reload
	buffer_load_dword v28, off, s[36:39], 0 offset:80 ; 4-byte Folded Reload
	;; [unrolled: 1-line block ×4, first 2 shown]
	v_mov_b32_e32 v26, s5
	v_add_co_u32_e32 v20, vcc, s4, v20
	v_addc_co_u32_e32 v21, vcc, v21, v26, vcc
	s_waitcnt vmcnt(0) lgkmcnt(1)
	v_mul_f64 v[22:23], v[29:30], v[6:7]
	v_mul_f64 v[24:25], v[29:30], v[4:5]
	v_fma_f64 v[4:5], v[27:28], v[4:5], v[22:23]
	v_fma_f64 v[6:7], v[27:28], v[6:7], -v[24:25]
	buffer_load_dword v27, off, s[36:39], 0 offset:92 ; 4-byte Folded Reload
	buffer_load_dword v28, off, s[36:39], 0 offset:96 ; 4-byte Folded Reload
	;; [unrolled: 1-line block ×4, first 2 shown]
	s_waitcnt vmcnt(0)
	v_mul_f64 v[22:23], v[29:30], v[18:19]
	v_mul_f64 v[24:25], v[29:30], v[16:17]
	global_store_dwordx4 v[20:21], v[0:3], off
	v_mov_b32_e32 v30, s2
	v_mul_f64 v[0:1], v[4:5], s[0:1]
	v_mul_f64 v[2:3], v[6:7], s[0:1]
	ds_read_b128 v[4:7], v112 offset:2016
	v_add_co_u32_e32 v20, vcc, s3, v20
	v_fma_f64 v[22:23], v[27:28], v[16:17], v[22:23]
	v_fma_f64 v[24:25], v[27:28], v[18:19], -v[24:25]
	ds_read_b128 v[16:19], v112 offset:3024
	buffer_load_dword v31, off, s[36:39], 0 offset:108 ; 4-byte Folded Reload
	buffer_load_dword v32, off, s[36:39], 0 offset:112 ; 4-byte Folded Reload
	;; [unrolled: 1-line block ×4, first 2 shown]
	v_addc_co_u32_e32 v21, vcc, v21, v30, vcc
	global_store_dwordx4 v[20:21], v[0:3], off
	v_add_co_u32_e32 v20, vcc, s3, v20
	v_mul_f64 v[0:1], v[22:23], s[0:1]
	v_mul_f64 v[2:3], v[24:25], s[0:1]
	v_addc_co_u32_e32 v21, vcc, v21, v30, vcc
	v_mov_b32_e32 v30, s5
	s_waitcnt vmcnt(1) lgkmcnt(1)
	v_mul_f64 v[26:27], v[33:34], v[6:7]
	v_mul_f64 v[28:29], v[33:34], v[4:5]
	v_fma_f64 v[4:5], v[31:32], v[4:5], v[26:27]
	v_fma_f64 v[6:7], v[31:32], v[6:7], -v[28:29]
	buffer_load_dword v26, off, s[36:39], 0 offset:140 ; 4-byte Folded Reload
	buffer_load_dword v27, off, s[36:39], 0 offset:144 ; 4-byte Folded Reload
	;; [unrolled: 1-line block ×4, first 2 shown]
	s_waitcnt vmcnt(0)
	v_mul_f64 v[22:23], v[28:29], v[10:11]
	v_mul_f64 v[24:25], v[28:29], v[8:9]
	global_store_dwordx4 v[20:21], v[0:3], off
	v_add_co_u32_e32 v20, vcc, s4, v20
	v_mul_f64 v[0:1], v[4:5], s[0:1]
	v_mul_f64 v[2:3], v[6:7], s[0:1]
	ds_read_b128 v[4:7], v112 offset:12096
	v_fma_f64 v[22:23], v[26:27], v[8:9], v[22:23]
	v_fma_f64 v[24:25], v[26:27], v[10:11], -v[24:25]
	ds_read_b128 v[8:11], v112 offset:13104
	buffer_load_dword v31, off, s[36:39], 0 offset:156 ; 4-byte Folded Reload
	buffer_load_dword v32, off, s[36:39], 0 offset:160 ; 4-byte Folded Reload
	;; [unrolled: 1-line block ×4, first 2 shown]
	v_addc_co_u32_e32 v21, vcc, v21, v30, vcc
	global_store_dwordx4 v[20:21], v[0:3], off
	v_mov_b32_e32 v30, s2
	v_mul_f64 v[0:1], v[22:23], s[0:1]
	v_mul_f64 v[2:3], v[24:25], s[0:1]
	v_add_co_u32_e32 v20, vcc, s3, v20
	v_addc_co_u32_e32 v21, vcc, v21, v30, vcc
	s_waitcnt vmcnt(1) lgkmcnt(1)
	v_mul_f64 v[26:27], v[33:34], v[6:7]
	v_mul_f64 v[28:29], v[33:34], v[4:5]
	v_fma_f64 v[4:5], v[31:32], v[4:5], v[26:27]
	v_fma_f64 v[6:7], v[31:32], v[6:7], -v[28:29]
	buffer_load_dword v26, off, s[36:39], 0 offset:172 ; 4-byte Folded Reload
	buffer_load_dword v27, off, s[36:39], 0 offset:176 ; 4-byte Folded Reload
	;; [unrolled: 1-line block ×4, first 2 shown]
	s_waitcnt vmcnt(0)
	v_mul_f64 v[22:23], v[28:29], v[18:19]
	v_mul_f64 v[24:25], v[28:29], v[16:17]
	global_store_dwordx4 v[20:21], v[0:3], off
	v_add_co_u32_e32 v20, vcc, s3, v20
	v_mul_f64 v[0:1], v[4:5], s[0:1]
	v_mul_f64 v[2:3], v[6:7], s[0:1]
	ds_read_b128 v[4:7], v112 offset:8064
	v_fma_f64 v[22:23], v[26:27], v[16:17], v[22:23]
	v_fma_f64 v[24:25], v[26:27], v[18:19], -v[24:25]
	ds_read_b128 v[16:19], v112 offset:9072
	buffer_load_dword v31, off, s[36:39], 0 offset:188 ; 4-byte Folded Reload
	buffer_load_dword v32, off, s[36:39], 0 offset:192 ; 4-byte Folded Reload
	;; [unrolled: 1-line block ×4, first 2 shown]
	v_addc_co_u32_e32 v21, vcc, v21, v30, vcc
	global_store_dwordx4 v[20:21], v[0:3], off
	v_mov_b32_e32 v30, s5
	v_mul_f64 v[0:1], v[22:23], s[0:1]
	v_mul_f64 v[2:3], v[24:25], s[0:1]
	v_add_co_u32_e32 v20, vcc, s4, v20
	v_addc_co_u32_e32 v21, vcc, v21, v30, vcc
	s_waitcnt vmcnt(1) lgkmcnt(1)
	v_mul_f64 v[26:27], v[33:34], v[6:7]
	v_mul_f64 v[28:29], v[33:34], v[4:5]
	v_fma_f64 v[4:5], v[31:32], v[4:5], v[26:27]
	v_fma_f64 v[6:7], v[31:32], v[6:7], -v[28:29]
	buffer_load_dword v31, off, s[36:39], 0 offset:204 ; 4-byte Folded Reload
	buffer_load_dword v32, off, s[36:39], 0 offset:208 ; 4-byte Folded Reload
	;; [unrolled: 1-line block ×4, first 2 shown]
	v_mov_b32_e32 v26, s2
	global_store_dwordx4 v[20:21], v[0:3], off
	buffer_load_dword v27, off, s[36:39], 0 offset:236 ; 4-byte Folded Reload
	buffer_load_dword v28, off, s[36:39], 0 offset:240 ; 4-byte Folded Reload
	;; [unrolled: 1-line block ×4, first 2 shown]
	v_add_co_u32_e32 v20, vcc, s3, v20
	v_mul_f64 v[0:1], v[4:5], s[0:1]
	v_mul_f64 v[2:3], v[6:7], s[0:1]
	v_addc_co_u32_e32 v21, vcc, v21, v26, vcc
	v_mov_b32_e32 v26, s5
	global_store_dwordx4 v[20:21], v[0:3], off
	s_waitcnt vmcnt(6)
	v_mul_f64 v[22:23], v[33:34], v[10:11]
	v_mul_f64 v[24:25], v[33:34], v[8:9]
	v_fma_f64 v[4:5], v[31:32], v[8:9], v[22:23]
	v_fma_f64 v[6:7], v[31:32], v[10:11], -v[24:25]
	s_waitcnt vmcnt(1)
	v_mul_f64 v[8:9], v[29:30], v[14:15]
	v_mul_f64 v[10:11], v[29:30], v[12:13]
	v_mov_b32_e32 v22, s2
	v_mul_f64 v[0:1], v[4:5], s[0:1]
	v_mul_f64 v[2:3], v[6:7], s[0:1]
	v_fma_f64 v[8:9], v[27:28], v[12:13], v[8:9]
	v_fma_f64 v[10:11], v[27:28], v[14:15], -v[10:11]
	ds_read_b128 v[4:7], v112 offset:14112
	buffer_load_dword v27, off, s[36:39], 0 offset:220 ; 4-byte Folded Reload
	buffer_load_dword v28, off, s[36:39], 0 offset:224 ; 4-byte Folded Reload
	buffer_load_dword v29, off, s[36:39], 0 offset:228 ; 4-byte Folded Reload
	buffer_load_dword v30, off, s[36:39], 0 offset:232 ; 4-byte Folded Reload
	v_add_co_u32_e32 v12, vcc, s3, v20
	v_addc_co_u32_e32 v13, vcc, v21, v22, vcc
	s_waitcnt vmcnt(0) lgkmcnt(1)
	v_mul_f64 v[14:15], v[29:30], v[18:19]
	v_mul_f64 v[20:21], v[29:30], v[16:17]
	buffer_load_dword v29, off, s[36:39], 0 offset:252 ; 4-byte Folded Reload
	buffer_load_dword v30, off, s[36:39], 0 offset:256 ; 4-byte Folded Reload
	;; [unrolled: 1-line block ×4, first 2 shown]
	s_waitcnt vmcnt(0) lgkmcnt(0)
	v_mul_f64 v[22:23], v[31:32], v[6:7]
	v_mul_f64 v[24:25], v[31:32], v[4:5]
	global_store_dwordx4 v[12:13], v[0:3], off
	v_add_co_u32_e32 v12, vcc, s4, v12
	v_mul_f64 v[0:1], v[8:9], s[0:1]
	v_mul_f64 v[2:3], v[10:11], s[0:1]
	v_fma_f64 v[8:9], v[27:28], v[16:17], v[14:15]
	v_fma_f64 v[10:11], v[27:28], v[18:19], -v[20:21]
	v_fma_f64 v[4:5], v[29:30], v[4:5], v[22:23]
	v_fma_f64 v[6:7], v[29:30], v[6:7], -v[24:25]
	v_addc_co_u32_e32 v13, vcc, v13, v26, vcc
	global_store_dwordx4 v[12:13], v[0:3], off
	s_nop 0
	v_mul_f64 v[0:1], v[8:9], s[0:1]
	v_mul_f64 v[2:3], v[10:11], s[0:1]
	;; [unrolled: 1-line block ×4, first 2 shown]
	v_mov_b32_e32 v9, s2
	v_add_co_u32_e32 v8, vcc, s3, v12
	v_addc_co_u32_e32 v9, vcc, v13, v9, vcc
	global_store_dwordx4 v[8:9], v[0:3], off
	s_nop 0
	v_mov_b32_e32 v1, s2
	v_add_co_u32_e32 v0, vcc, s3, v8
	v_addc_co_u32_e32 v1, vcc, v9, v1, vcc
	global_store_dwordx4 v[0:1], v[4:7], off
.LBB0_10:
	s_endpgm
	.section	.rodata,"a",@progbits
	.p2align	6, 0x0
	.amdhsa_kernel bluestein_single_fwd_len945_dim1_dp_op_CI_CI
		.amdhsa_group_segment_fixed_size 15120
		.amdhsa_private_segment_fixed_size 564
		.amdhsa_kernarg_size 104
		.amdhsa_user_sgpr_count 6
		.amdhsa_user_sgpr_private_segment_buffer 1
		.amdhsa_user_sgpr_dispatch_ptr 0
		.amdhsa_user_sgpr_queue_ptr 0
		.amdhsa_user_sgpr_kernarg_segment_ptr 1
		.amdhsa_user_sgpr_dispatch_id 0
		.amdhsa_user_sgpr_flat_scratch_init 0
		.amdhsa_user_sgpr_private_segment_size 0
		.amdhsa_uses_dynamic_stack 0
		.amdhsa_system_sgpr_private_segment_wavefront_offset 1
		.amdhsa_system_sgpr_workgroup_id_x 1
		.amdhsa_system_sgpr_workgroup_id_y 0
		.amdhsa_system_sgpr_workgroup_id_z 0
		.amdhsa_system_sgpr_workgroup_info 0
		.amdhsa_system_vgpr_workitem_id 0
		.amdhsa_next_free_vgpr 256
		.amdhsa_next_free_sgpr 40
		.amdhsa_reserve_vcc 1
		.amdhsa_reserve_flat_scratch 0
		.amdhsa_float_round_mode_32 0
		.amdhsa_float_round_mode_16_64 0
		.amdhsa_float_denorm_mode_32 3
		.amdhsa_float_denorm_mode_16_64 3
		.amdhsa_dx10_clamp 1
		.amdhsa_ieee_mode 1
		.amdhsa_fp16_overflow 0
		.amdhsa_exception_fp_ieee_invalid_op 0
		.amdhsa_exception_fp_denorm_src 0
		.amdhsa_exception_fp_ieee_div_zero 0
		.amdhsa_exception_fp_ieee_overflow 0
		.amdhsa_exception_fp_ieee_underflow 0
		.amdhsa_exception_fp_ieee_inexact 0
		.amdhsa_exception_int_div_zero 0
	.end_amdhsa_kernel
	.text
.Lfunc_end0:
	.size	bluestein_single_fwd_len945_dim1_dp_op_CI_CI, .Lfunc_end0-bluestein_single_fwd_len945_dim1_dp_op_CI_CI
                                        ; -- End function
	.section	.AMDGPU.csdata,"",@progbits
; Kernel info:
; codeLenInByte = 24076
; NumSgprs: 44
; NumVgprs: 256
; ScratchSize: 564
; MemoryBound: 0
; FloatMode: 240
; IeeeMode: 1
; LDSByteSize: 15120 bytes/workgroup (compile time only)
; SGPRBlocks: 5
; VGPRBlocks: 63
; NumSGPRsForWavesPerEU: 44
; NumVGPRsForWavesPerEU: 256
; Occupancy: 1
; WaveLimiterHint : 1
; COMPUTE_PGM_RSRC2:SCRATCH_EN: 1
; COMPUTE_PGM_RSRC2:USER_SGPR: 6
; COMPUTE_PGM_RSRC2:TRAP_HANDLER: 0
; COMPUTE_PGM_RSRC2:TGID_X_EN: 1
; COMPUTE_PGM_RSRC2:TGID_Y_EN: 0
; COMPUTE_PGM_RSRC2:TGID_Z_EN: 0
; COMPUTE_PGM_RSRC2:TIDIG_COMP_CNT: 0
	.type	__hip_cuid_76a6b8faaf026585,@object ; @__hip_cuid_76a6b8faaf026585
	.section	.bss,"aw",@nobits
	.globl	__hip_cuid_76a6b8faaf026585
__hip_cuid_76a6b8faaf026585:
	.byte	0                               ; 0x0
	.size	__hip_cuid_76a6b8faaf026585, 1

	.ident	"AMD clang version 19.0.0git (https://github.com/RadeonOpenCompute/llvm-project roc-6.4.0 25133 c7fe45cf4b819c5991fe208aaa96edf142730f1d)"
	.section	".note.GNU-stack","",@progbits
	.addrsig
	.addrsig_sym __hip_cuid_76a6b8faaf026585
	.amdgpu_metadata
---
amdhsa.kernels:
  - .args:
      - .actual_access:  read_only
        .address_space:  global
        .offset:         0
        .size:           8
        .value_kind:     global_buffer
      - .actual_access:  read_only
        .address_space:  global
        .offset:         8
        .size:           8
        .value_kind:     global_buffer
      - .actual_access:  read_only
        .address_space:  global
        .offset:         16
        .size:           8
        .value_kind:     global_buffer
      - .actual_access:  read_only
        .address_space:  global
        .offset:         24
        .size:           8
        .value_kind:     global_buffer
      - .actual_access:  read_only
        .address_space:  global
        .offset:         32
        .size:           8
        .value_kind:     global_buffer
      - .offset:         40
        .size:           8
        .value_kind:     by_value
      - .address_space:  global
        .offset:         48
        .size:           8
        .value_kind:     global_buffer
      - .address_space:  global
        .offset:         56
        .size:           8
        .value_kind:     global_buffer
      - .address_space:  global
        .offset:         64
        .size:           8
        .value_kind:     global_buffer
      - .address_space:  global
        .offset:         72
        .size:           8
        .value_kind:     global_buffer
      - .offset:         80
        .size:           4
        .value_kind:     by_value
      - .address_space:  global
        .offset:         88
        .size:           8
        .value_kind:     global_buffer
      - .address_space:  global
        .offset:         96
        .size:           8
        .value_kind:     global_buffer
    .group_segment_fixed_size: 15120
    .kernarg_segment_align: 8
    .kernarg_segment_size: 104
    .language:       OpenCL C
    .language_version:
      - 2
      - 0
    .max_flat_workgroup_size: 63
    .name:           bluestein_single_fwd_len945_dim1_dp_op_CI_CI
    .private_segment_fixed_size: 564
    .sgpr_count:     44
    .sgpr_spill_count: 0
    .symbol:         bluestein_single_fwd_len945_dim1_dp_op_CI_CI.kd
    .uniform_work_group_size: 1
    .uses_dynamic_stack: false
    .vgpr_count:     256
    .vgpr_spill_count: 144
    .wavefront_size: 64
amdhsa.target:   amdgcn-amd-amdhsa--gfx906
amdhsa.version:
  - 1
  - 2
...

	.end_amdgpu_metadata
